;; amdgpu-corpus repo=ROCm/rocFFT kind=compiled arch=gfx90a opt=O3
	.text
	.amdgcn_target "amdgcn-amd-amdhsa--gfx90a"
	.amdhsa_code_object_version 6
	.protected	bluestein_single_fwd_len150_dim1_dp_op_CI_CI ; -- Begin function bluestein_single_fwd_len150_dim1_dp_op_CI_CI
	.globl	bluestein_single_fwd_len150_dim1_dp_op_CI_CI
	.p2align	8
	.type	bluestein_single_fwd_len150_dim1_dp_op_CI_CI,@function
bluestein_single_fwd_len150_dim1_dp_op_CI_CI: ; @bluestein_single_fwd_len150_dim1_dp_op_CI_CI
; %bb.0:
	s_load_dwordx4 s[12:15], s[4:5], 0x28
	v_mul_u32_u24_e32 v1, 0x3334, v0
	v_lshrrev_b32_e32 v4, 16, v1
	v_mad_u64_u32 v[2:3], s[0:1], s6, 12, v[4:5]
	v_mov_b32_e32 v3, 0
	s_waitcnt lgkmcnt(0)
	v_cmp_gt_u64_e32 vcc, s[12:13], v[2:3]
	s_and_saveexec_b64 s[0:1], vcc
	s_cbranch_execz .LBB0_2
; %bb.1:
	s_load_dwordx4 s[8:11], s[4:5], 0x0
	s_load_dwordx4 s[16:19], s[4:5], 0x18
	s_load_dwordx2 s[12:13], s[4:5], 0x38
	v_mul_lo_u16_e32 v1, 5, v4
	s_mov_b32 s0, 0xaaaaaaab
	v_sub_u16_e32 v247, v0, v1
	v_mul_hi_u32 v0, v2, s0
	s_waitcnt lgkmcnt(0)
	s_load_dwordx4 s[0:3], s[18:19], 0x0
	v_lshrrev_b32_e32 v0, 3, v0
	v_mul_lo_u32 v0, v0, 12
	v_sub_u32_e32 v0, v2, v0
	v_mul_u32_u24_e32 v10, 0x96, v0
	s_waitcnt lgkmcnt(0)
	v_mad_u64_u32 v[4:5], s[4:5], s2, v2, 0
	s_load_dwordx4 s[4:7], s[16:17], 0x0
	v_mov_b32_e32 v0, v5
	v_mad_u64_u32 v[0:1], s[2:3], s3, v2, v[0:1]
	v_mov_b32_e32 v5, v0
	v_accvgpr_write_b32 a0, v4
	s_waitcnt lgkmcnt(0)
	v_mad_u64_u32 v[0:1], s[2:3], s6, v2, 0
	v_accvgpr_write_b32 a1, v5
	v_mov_b32_e32 v4, v1
	v_mad_u64_u32 v[2:3], s[2:3], s7, v2, v[4:5]
	v_mov_b32_e32 v1, v2
	v_mad_u64_u32 v[2:3], s[2:3], s4, v247, 0
	;; [unrolled: 2-line block ×3, first 2 shown]
	v_lshlrev_b64 v[0:1], 4, v[0:1]
	v_mov_b32_e32 v3, v4
	v_add_co_u32_e32 v6, vcc, s14, v0
	v_mov_b32_e32 v0, s15
	v_addc_co_u32_e32 v7, vcc, v0, v1, vcc
	v_lshlrev_b64 v[0:1], 4, v[2:3]
	v_add_co_u32_e32 v4, vcc, v6, v0
	v_addc_co_u32_e32 v5, vcc, v7, v1, vcc
	v_lshlrev_b32_e32 v128, 4, v247
	global_load_dwordx4 v[0:3], v[4:5], off
	global_load_dwordx4 v[12:15], v128, s[8:9]
	v_mov_b32_e32 v244, 0xf0
	v_lshlrev_b32_e32 v246, 4, v10
	v_mad_u64_u32 v[4:5], s[2:3], s4, v244, v[4:5]
	v_add_u32_e32 v237, v128, v246
	s_mul_i32 s2, s5, 0xf0
	v_add_u32_e32 v5, s2, v5
	s_mul_i32 s3, s5, 0x1e0
	s_add_u32 s18, s8, 0x960
	s_addc_u32 s19, s9, 0
	s_mov_b32 s17, 0xbfe2cf23
	s_mov_b32 s23, 0xbfd3c6ef
	;; [unrolled: 1-line block ×6, first 2 shown]
	v_add_u32_e32 v250, 5, v247
	v_add_u32_e32 v248, 10, v247
	s_movk_i32 s26, 0xcd
	v_lshlrev_b32_e32 v252, 5, v247
	s_mov_b32 s27, 0xbfebb67a
	s_waitcnt vmcnt(0)
	v_accvgpr_write_b32 a2, v12
	v_mul_f64 v[8:9], v[2:3], v[14:15]
	v_fmac_f64_e32 v[8:9], v[0:1], v[12:13]
	v_mul_f64 v[0:1], v[0:1], v[14:15]
	v_fma_f64 v[10:11], v[2:3], v[12:13], -v[0:1]
	ds_write_b128 v237, v[8:11]
	v_accvgpr_write_b32 a3, v13
	v_accvgpr_write_b32 a4, v14
	v_accvgpr_write_b32 a5, v15
	global_load_dwordx4 v[0:3], v[4:5], off
	global_load_dwordx4 v[12:15], v128, s[8:9] offset:240
	v_mad_u64_u32 v[4:5], s[6:7], s4, v244, v[4:5]
	v_add_u32_e32 v5, s2, v5
	s_waitcnt vmcnt(0)
	v_mul_f64 v[8:9], v[2:3], v[14:15]
	v_fmac_f64_e32 v[8:9], v[0:1], v[12:13]
	v_mul_f64 v[0:1], v[0:1], v[14:15]
	v_fma_f64 v[10:11], v[2:3], v[12:13], -v[0:1]
	v_accvgpr_write_b32 a39, v15
	ds_write_b128 v237, v[8:11] offset:240
	v_accvgpr_write_b32 a38, v14
	v_accvgpr_write_b32 a37, v13
	v_accvgpr_write_b32 a36, v12
	global_load_dwordx4 v[0:3], v[4:5], off
	global_load_dwordx4 v[12:15], v128, s[8:9] offset:480
	v_mad_u64_u32 v[4:5], s[6:7], s4, v244, v[4:5]
	v_add_u32_e32 v5, s2, v5
	s_waitcnt vmcnt(0)
	v_mul_f64 v[8:9], v[2:3], v[14:15]
	v_fmac_f64_e32 v[8:9], v[0:1], v[12:13]
	v_mul_f64 v[0:1], v[0:1], v[14:15]
	v_fma_f64 v[10:11], v[2:3], v[12:13], -v[0:1]
	v_accvgpr_write_b32 a31, v15
	ds_write_b128 v237, v[8:11] offset:480
	;; [unrolled: 14-line block ×5, first 2 shown]
	v_accvgpr_write_b32 a18, v14
	v_accvgpr_write_b32 a17, v13
	v_accvgpr_write_b32 a16, v12
	global_load_dwordx4 v[0:3], v[4:5], off
	global_load_dwordx4 v[12:15], v128, s[8:9] offset:1440
	s_waitcnt vmcnt(0)
	v_mul_f64 v[8:9], v[2:3], v[14:15]
	v_fmac_f64_e32 v[8:9], v[0:1], v[12:13]
	v_mul_f64 v[0:1], v[0:1], v[14:15]
	v_fma_f64 v[10:11], v[2:3], v[12:13], -v[0:1]
	v_mad_u64_u32 v[0:1], s[6:7], s4, v244, v[4:5]
	v_accvgpr_write_b32 a12, v12
	ds_write_b128 v237, v[8:11] offset:1440
	v_add_u32_e32 v1, s2, v1
	v_accvgpr_write_b32 a13, v13
	v_accvgpr_write_b32 a14, v14
	;; [unrolled: 1-line block ×3, first 2 shown]
	global_load_dwordx4 v[2:5], v[0:1], off
	global_load_dwordx4 v[12:15], v128, s[8:9] offset:1680
	s_waitcnt vmcnt(0)
	v_mul_f64 v[8:9], v[4:5], v[14:15]
	v_fmac_f64_e32 v[8:9], v[2:3], v[12:13]
	v_mul_f64 v[2:3], v[2:3], v[14:15]
	v_fma_f64 v[10:11], v[4:5], v[12:13], -v[2:3]
	ds_write_b128 v237, v[8:11] offset:1680
	v_or_b32_e32 v8, 0x78, v247
	v_mad_u64_u32 v[2:3], s[6:7], s4, v8, 0
	v_mov_b32_e32 v4, v3
	v_mad_u64_u32 v[4:5], s[6:7], s5, v8, v[4:5]
	v_mov_b32_e32 v3, v4
	v_lshlrev_b64 v[2:3], 4, v[2:3]
	v_accvgpr_write_b32 a6, v8
	v_add_co_u32_e32 v8, vcc, v6, v2
	v_accvgpr_write_b32 a8, v12
	v_addc_co_u32_e32 v9, vcc, v7, v3, vcc
	v_accvgpr_write_b32 a9, v13
	v_accvgpr_write_b32 a10, v14
	;; [unrolled: 1-line block ×3, first 2 shown]
	global_load_dwordx4 v[2:5], v[8:9], off
	global_load_dwordx4 v[12:15], v128, s[8:9] offset:1920
	v_add_co_u32_e32 v129, vcc, 20, v247
	s_waitcnt vmcnt(0)
	v_mul_f64 v[8:9], v[4:5], v[14:15]
	v_fmac_f64_e32 v[8:9], v[2:3], v[12:13]
	v_mul_f64 v[2:3], v[2:3], v[14:15]
	v_fma_f64 v[10:11], v[4:5], v[12:13], -v[2:3]
	v_mov_b32_e32 v2, 0x1e0
	v_mad_u64_u32 v[4:5], s[6:7], s4, v2, v[0:1]
	v_accvgpr_write_b32 a23, v15
	ds_write_b128 v237, v[8:11] offset:1920
	v_add_u32_e32 v5, s3, v5
	v_accvgpr_write_b32 a22, v14
	v_accvgpr_write_b32 a21, v13
	;; [unrolled: 1-line block ×3, first 2 shown]
	global_load_dwordx4 v[0:3], v[4:5], off
	global_load_dwordx4 v[14:17], v128, s[8:9] offset:2160
	v_mov_b32_e32 v12, 0x1e0
	v_mov_b32_e32 v13, 0xfffff7e0
	s_waitcnt vmcnt(0)
	v_mul_f64 v[8:9], v[2:3], v[16:17]
	v_fmac_f64_e32 v[8:9], v[0:1], v[14:15]
	v_mul_f64 v[0:1], v[0:1], v[16:17]
	v_fma_f64 v[10:11], v[2:3], v[14:15], -v[0:1]
	v_mov_b32_e32 v0, 0xfffff7e0
	v_mad_u64_u32 v[4:5], s[6:7], s4, v0, v[4:5]
	s_mul_i32 s6, s5, 0xfffff7e0
	s_sub_i32 s6, s6, s4
	v_accvgpr_write_b32 a125, v17
	ds_write_b128 v237, v[8:11] offset:2160
	v_add_u32_e32 v5, s6, v5
	v_accvgpr_write_b32 a124, v16
	v_accvgpr_write_b32 a123, v15
	v_accvgpr_write_b32 a122, v14
	global_load_dwordx4 v[0:3], v[4:5], off
	global_load_dwordx4 v[14:17], v128, s[8:9] offset:80
	v_mad_u64_u32 v[4:5], s[14:15], s4, v244, v[4:5]
	v_add_u32_e32 v5, s2, v5
	s_waitcnt vmcnt(0)
	v_mul_f64 v[8:9], v[2:3], v[16:17]
	v_fmac_f64_e32 v[8:9], v[0:1], v[14:15]
	v_mul_f64 v[0:1], v[0:1], v[16:17]
	v_fma_f64 v[10:11], v[2:3], v[14:15], -v[0:1]
	v_accvgpr_write_b32 a55, v17
	ds_write_b128 v237, v[8:11] offset:80
	v_accvgpr_write_b32 a54, v16
	v_accvgpr_write_b32 a53, v15
	v_accvgpr_write_b32 a52, v14
	global_load_dwordx4 v[0:3], v[4:5], off
	global_load_dwordx4 v[14:17], v128, s[8:9] offset:320
	v_mad_u64_u32 v[4:5], s[14:15], s4, v244, v[4:5]
	v_add_u32_e32 v5, s2, v5
	s_waitcnt vmcnt(0)
	v_mul_f64 v[8:9], v[2:3], v[16:17]
	v_fmac_f64_e32 v[8:9], v[0:1], v[14:15]
	v_mul_f64 v[0:1], v[0:1], v[16:17]
	v_fma_f64 v[10:11], v[2:3], v[14:15], -v[0:1]
	v_accvgpr_write_b32 a51, v17
	ds_write_b128 v237, v[8:11] offset:320
	;; [unrolled: 14-line block ×4, first 2 shown]
	v_accvgpr_write_b32 a42, v16
	v_accvgpr_write_b32 a41, v15
	;; [unrolled: 1-line block ×3, first 2 shown]
	global_load_dwordx4 v[0:3], v[4:5], off
	global_load_dwordx4 v[14:17], v128, s[8:9] offset:1040
	v_mad_u64_u32 v[4:5], s[14:15], s4, v12, v[4:5]
	v_add_u32_e32 v5, s3, v5
	s_waitcnt vmcnt(0)
	v_mul_f64 v[8:9], v[2:3], v[16:17]
	v_fmac_f64_e32 v[8:9], v[0:1], v[14:15]
	v_mul_f64 v[0:1], v[0:1], v[16:17]
	v_fma_f64 v[10:11], v[2:3], v[14:15], -v[0:1]
	ds_write_b128 v237, v[8:11] offset:1040
	v_or_b32_e32 v8, 0x50, v247
	v_mad_u64_u32 v[0:1], s[14:15], s4, v8, 0
	v_mov_b32_e32 v2, v1
	v_mad_u64_u32 v[2:3], s[14:15], s5, v8, v[2:3]
	v_mov_b32_e32 v1, v2
	v_lshlrev_b64 v[0:1], 4, v[0:1]
	v_accvgpr_write_b32 a56, v8
	v_add_co_u32_e32 v8, vcc, v6, v0
	v_accvgpr_write_b32 a77, v17
	v_addc_co_u32_e32 v9, vcc, v7, v1, vcc
	v_accvgpr_write_b32 a76, v16
	v_accvgpr_write_b32 a75, v15
	;; [unrolled: 1-line block ×3, first 2 shown]
	global_load_dwordx4 v[0:3], v[8:9], off
	global_load_dwordx4 v[14:17], v128, s[8:9] offset:1280
	v_add_co_u32_e32 v249, vcc, 25, v247
	s_waitcnt vmcnt(0)
	v_mul_f64 v[8:9], v[2:3], v[16:17]
	v_fmac_f64_e32 v[8:9], v[0:1], v[14:15]
	v_mul_f64 v[0:1], v[0:1], v[16:17]
	v_fma_f64 v[10:11], v[2:3], v[14:15], -v[0:1]
	v_accvgpr_write_b32 a81, v17
	ds_write_b128 v237, v[8:11] offset:1280
	v_accvgpr_write_b32 a80, v16
	v_accvgpr_write_b32 a79, v15
	;; [unrolled: 1-line block ×3, first 2 shown]
	global_load_dwordx4 v[0:3], v[4:5], off
	global_load_dwordx4 v[16:19], v128, s[8:9] offset:1520
	v_mad_u64_u32 v[4:5], s[14:15], s4, v244, v[4:5]
	v_add_u32_e32 v5, s2, v5
	v_mov_b32_e32 v14, 0x1e0
	s_waitcnt vmcnt(0)
	v_mul_f64 v[8:9], v[2:3], v[18:19]
	v_fmac_f64_e32 v[8:9], v[0:1], v[16:17]
	v_mul_f64 v[0:1], v[0:1], v[18:19]
	v_fma_f64 v[10:11], v[2:3], v[16:17], -v[0:1]
	v_accvgpr_write_b32 a73, v19
	ds_write_b128 v237, v[8:11] offset:1520
	v_accvgpr_write_b32 a72, v18
	v_accvgpr_write_b32 a71, v17
	v_accvgpr_write_b32 a70, v16
	global_load_dwordx4 v[0:3], v[4:5], off
	global_load_dwordx4 v[16:19], v128, s[8:9] offset:1760
	v_mad_u64_u32 v[4:5], s[14:15], s4, v244, v[4:5]
	v_add_u32_e32 v5, s2, v5
	s_waitcnt vmcnt(0)
	v_mul_f64 v[8:9], v[2:3], v[18:19]
	v_fmac_f64_e32 v[8:9], v[0:1], v[16:17]
	v_mul_f64 v[0:1], v[0:1], v[18:19]
	v_fma_f64 v[10:11], v[2:3], v[16:17], -v[0:1]
	v_accvgpr_write_b32 a69, v19
	ds_write_b128 v237, v[8:11] offset:1760
	v_accvgpr_write_b32 a68, v18
	v_accvgpr_write_b32 a67, v17
	v_accvgpr_write_b32 a66, v16
	global_load_dwordx4 v[0:3], v[4:5], off
	global_load_dwordx4 v[16:19], v128, s[8:9] offset:2000
	v_mad_u64_u32 v[4:5], s[14:15], s4, v244, v[4:5]
	v_add_u32_e32 v5, s2, v5
	;; [unrolled: 14-line block ×3, first 2 shown]
	v_mad_u64_u32 v[12:13], s[6:7], s4, v244, v[4:5]
	v_add_u32_e32 v13, s2, v13
	s_mov_b32 s15, 0xbfee6f0e
	s_waitcnt vmcnt(0)
	v_mul_f64 v[8:9], v[2:3], v[18:19]
	v_fmac_f64_e32 v[8:9], v[0:1], v[16:17]
	v_mul_f64 v[0:1], v[0:1], v[18:19]
	v_fma_f64 v[10:11], v[2:3], v[16:17], -v[0:1]
	v_accvgpr_write_b32 a61, v19
	ds_write_b128 v237, v[8:11] offset:2240
	v_accvgpr_write_b32 a60, v18
	v_accvgpr_write_b32 a59, v17
	;; [unrolled: 1-line block ×3, first 2 shown]
	global_load_dwordx4 v[0:3], v[4:5], off
	global_load_dwordx4 v[16:19], v128, s[8:9] offset:160
	v_or_b32_e32 v4, 40, v247
	v_mov_b32_e32 v251, v4
	v_accvgpr_write_b32 a7, v251
	s_waitcnt vmcnt(0)
	v_mul_f64 v[8:9], v[2:3], v[18:19]
	v_fmac_f64_e32 v[8:9], v[0:1], v[16:17]
	v_mul_f64 v[0:1], v[0:1], v[18:19]
	v_fma_f64 v[10:11], v[2:3], v[16:17], -v[0:1]
	v_accvgpr_write_b32 a85, v19
	ds_write_b128 v237, v[8:11] offset:160
	v_accvgpr_write_b32 a84, v18
	v_accvgpr_write_b32 a83, v17
	;; [unrolled: 1-line block ×3, first 2 shown]
	global_load_dwordx4 v[0:3], v[12:13], off
	global_load_dwordx4 v[16:19], v128, s[8:9] offset:400
	s_waitcnt vmcnt(0)
	v_mul_f64 v[8:9], v[2:3], v[18:19]
	v_fmac_f64_e32 v[8:9], v[0:1], v[16:17]
	v_mul_f64 v[0:1], v[0:1], v[18:19]
	v_fma_f64 v[10:11], v[2:3], v[16:17], -v[0:1]
	v_mad_u64_u32 v[0:1], s[6:7], s4, v4, 0
	v_mov_b32_e32 v2, v1
	v_mad_u64_u32 v[2:3], s[6:7], s5, v4, v[2:3]
	v_mov_b32_e32 v1, v2
	v_lshlrev_b64 v[0:1], 4, v[0:1]
	v_add_co_u32_e32 v4, vcc, v6, v0
	ds_write_b128 v237, v[8:11] offset:400
	v_addc_co_u32_e32 v5, vcc, v7, v1, vcc
	global_load_dwordx4 v[0:3], v[4:5], off
	global_load_dwordx4 v[8:11], v128, s[8:9] offset:640
	v_accvgpr_write_b32 a89, v19
	v_accvgpr_write_b32 a88, v18
	;; [unrolled: 1-line block ×4, first 2 shown]
	s_waitcnt vmcnt(0)
	v_mul_f64 v[4:5], v[2:3], v[10:11]
	v_fmac_f64_e32 v[4:5], v[0:1], v[8:9]
	v_mul_f64 v[0:1], v[0:1], v[10:11]
	v_accvgpr_write_b32 a117, v11
	v_fma_f64 v[6:7], v[2:3], v[8:9], -v[0:1]
	v_accvgpr_write_b32 a116, v10
	v_accvgpr_write_b32 a115, v9
	;; [unrolled: 1-line block ×3, first 2 shown]
	v_mad_u64_u32 v[8:9], s[6:7], s4, v14, v[12:13]
	ds_write_b128 v237, v[4:7] offset:640
	v_add_u32_e32 v9, s3, v9
	global_load_dwordx4 v[0:3], v[8:9], off
	global_load_dwordx4 v[10:13], v128, s[8:9] offset:880
	v_mad_u64_u32 v[8:9], s[6:7], s4, v244, v[8:9]
	v_add_u32_e32 v9, s2, v9
	s_waitcnt vmcnt(0)
	v_mul_f64 v[4:5], v[2:3], v[12:13]
	v_fmac_f64_e32 v[4:5], v[0:1], v[10:11]
	v_mul_f64 v[0:1], v[0:1], v[12:13]
	v_fma_f64 v[6:7], v[2:3], v[10:11], -v[0:1]
	v_accvgpr_write_b32 a113, v13
	ds_write_b128 v237, v[4:7] offset:880
	v_accvgpr_write_b32 a112, v12
	v_accvgpr_write_b32 a111, v11
	v_accvgpr_write_b32 a110, v10
	global_load_dwordx4 v[0:3], v[8:9], off
	global_load_dwordx4 v[10:13], v128, s[8:9] offset:1120
	v_mad_u64_u32 v[8:9], s[6:7], s4, v244, v[8:9]
	v_add_u32_e32 v9, s2, v9
	s_waitcnt vmcnt(0)
	v_mul_f64 v[4:5], v[2:3], v[12:13]
	v_fmac_f64_e32 v[4:5], v[0:1], v[10:11]
	v_mul_f64 v[0:1], v[0:1], v[12:13]
	v_fma_f64 v[6:7], v[2:3], v[10:11], -v[0:1]
	v_accvgpr_write_b32 a109, v13
	ds_write_b128 v237, v[4:7] offset:1120
	v_accvgpr_write_b32 a108, v12
	v_accvgpr_write_b32 a107, v11
	v_accvgpr_write_b32 a106, v10
	;; [unrolled: 14-line block ×4, first 2 shown]
	global_load_dwordx4 v[0:3], v[8:9], off
	global_load_dwordx4 v[10:13], v128, s[8:9] offset:1840
	v_mad_u64_u32 v[8:9], s[6:7], s4, v244, v[8:9]
	v_add_u32_e32 v9, s2, v9
	s_mov_b32 s6, 0x372fe950
	s_mov_b32 s7, 0x3fd3c6ef
	;; [unrolled: 1-line block ×3, first 2 shown]
	s_waitcnt vmcnt(0)
	v_mul_f64 v[4:5], v[2:3], v[12:13]
	v_fmac_f64_e32 v[4:5], v[0:1], v[10:11]
	v_mul_f64 v[0:1], v[0:1], v[12:13]
	v_fma_f64 v[6:7], v[2:3], v[10:11], -v[0:1]
	v_accvgpr_write_b32 a93, v13
	ds_write_b128 v237, v[4:7] offset:1840
	v_accvgpr_write_b32 a92, v12
	v_accvgpr_write_b32 a91, v11
	;; [unrolled: 1-line block ×3, first 2 shown]
	global_load_dwordx4 v[0:3], v[8:9], off
	global_load_dwordx4 v[10:13], v128, s[8:9] offset:2080
	s_waitcnt vmcnt(0)
	v_mul_f64 v[4:5], v[2:3], v[12:13]
	v_fmac_f64_e32 v[4:5], v[0:1], v[10:11]
	v_mul_f64 v[0:1], v[0:1], v[12:13]
	v_fma_f64 v[6:7], v[2:3], v[10:11], -v[0:1]
	v_mad_u64_u32 v[0:1], s[4:5], s4, v244, v[8:9]
	ds_write_b128 v237, v[4:7] offset:2080
	v_add_u32_e32 v1, s2, v1
	global_load_dwordx4 v[0:3], v[0:1], off
	s_nop 0
	global_load_dwordx4 v[4:7], v128, s[8:9] offset:2320
	v_accvgpr_write_b32 a101, v13
	v_accvgpr_write_b32 a100, v12
	;; [unrolled: 1-line block ×4, first 2 shown]
	s_mov_b32 s2, 0x134454ff
	s_mov_b32 s3, 0x3fee6f0e
	;; [unrolled: 1-line block ×6, first 2 shown]
	s_waitcnt vmcnt(0)
	v_pk_mov_b32 v[8:9], v[6:7], v[6:7] op_sel:[0,1]
	v_pk_mov_b32 v[6:7], v[4:5], v[4:5] op_sel:[0,1]
	v_mul_f64 v[4:5], v[2:3], v[8:9]
	v_fmac_f64_e32 v[4:5], v[0:1], v[6:7]
	v_mul_f64 v[0:1], v[0:1], v[8:9]
	v_pk_mov_b32 v[10:11], v[8:9], v[8:9] op_sel:[0,1]
	v_pk_mov_b32 v[8:9], v[6:7], v[6:7] op_sel:[0,1]
	v_fma_f64 v[6:7], v[2:3], v[8:9], -v[0:1]
	v_accvgpr_write_b32 a121, v11
	v_accvgpr_write_b32 a120, v10
	;; [unrolled: 1-line block ×4, first 2 shown]
	ds_write_b128 v237, v[4:7] offset:2320
	s_waitcnt lgkmcnt(0)
	; wave barrier
	s_waitcnt lgkmcnt(0)
	ds_read_b128 v[68:71], v237
	ds_read_b128 v[24:27], v237 offset:240
	ds_read_b128 v[16:19], v237 offset:480
	ds_read_b128 v[0:3], v237 offset:720
	ds_read_b128 v[28:31], v237 offset:960
	ds_read_b128 v[4:7], v237 offset:1200
	ds_read_b128 v[108:111], v237 offset:1440
	ds_read_b128 v[8:11], v237 offset:1680
	ds_read_b128 v[112:115], v237 offset:1920
	ds_read_b128 v[12:15], v237 offset:2160
	ds_read_b128 v[56:59], v237 offset:80
	ds_read_b128 v[88:91], v237 offset:320
	ds_read_b128 v[92:95], v237 offset:560
	ds_read_b128 v[48:51], v237 offset:800
	ds_read_b128 v[96:99], v237 offset:1040
	ds_read_b128 v[52:55], v237 offset:1280
	ds_read_b128 v[100:103], v237 offset:1520
	ds_read_b128 v[60:63], v237 offset:1760
	ds_read_b128 v[104:107], v237 offset:2000
	ds_read_b128 v[64:67], v237 offset:2240
	ds_read_b128 v[20:23], v237 offset:160
	ds_read_b128 v[132:135], v237 offset:400
	ds_read_b128 v[72:75], v237 offset:640
	ds_read_b128 v[32:35], v237 offset:880
	ds_read_b128 v[76:79], v237 offset:1120
	ds_read_b128 v[36:39], v237 offset:1360
	ds_read_b128 v[80:83], v237 offset:1600
	ds_read_b128 v[40:43], v237 offset:1840
	ds_read_b128 v[84:87], v237 offset:2080
	ds_read_b128 v[44:47], v237 offset:2320
	s_waitcnt lgkmcnt(14)
	v_add_f64 v[116:117], v[68:69], v[16:17]
	v_add_f64 v[116:117], v[116:117], v[28:29]
	;; [unrolled: 1-line block ×5, first 2 shown]
	v_fma_f64 v[116:117], -0.5, v[116:117], v[68:69]
	v_add_f64 v[120:121], v[18:19], -v[114:115]
	v_fma_f64 v[122:123], s[2:3], v[120:121], v[116:117]
	v_add_f64 v[126:127], v[30:31], -v[110:111]
	v_add_f64 v[124:125], v[16:17], -v[28:29]
	;; [unrolled: 1-line block ×3, first 2 shown]
	v_fmac_f64_e32 v[116:117], s[14:15], v[120:121]
	v_fmac_f64_e32 v[122:123], s[4:5], v[126:127]
	v_add_f64 v[124:125], v[124:125], v[130:131]
	v_fmac_f64_e32 v[116:117], s[16:17], v[126:127]
	v_fmac_f64_e32 v[122:123], s[6:7], v[124:125]
	v_fmac_f64_e32 v[116:117], s[6:7], v[124:125]
	v_add_f64 v[124:125], v[16:17], v[112:113]
	v_fmac_f64_e32 v[68:69], -0.5, v[124:125]
	v_fma_f64 v[124:125], s[14:15], v[126:127], v[68:69]
	v_fmac_f64_e32 v[68:69], s[2:3], v[126:127]
	v_fmac_f64_e32 v[124:125], s[4:5], v[120:121]
	;; [unrolled: 1-line block ×3, first 2 shown]
	v_add_f64 v[120:121], v[70:71], v[18:19]
	v_add_f64 v[130:131], v[28:29], -v[16:17]
	v_add_f64 v[136:137], v[108:109], -v[112:113]
	v_add_f64 v[120:121], v[120:121], v[30:31]
	v_add_f64 v[130:131], v[130:131], v[136:137]
	;; [unrolled: 1-line block ×3, first 2 shown]
	v_fmac_f64_e32 v[124:125], s[6:7], v[130:131]
	v_fmac_f64_e32 v[68:69], s[6:7], v[130:131]
	v_add_f64 v[130:131], v[120:121], v[114:115]
	v_add_f64 v[120:121], v[30:31], v[110:111]
	v_fma_f64 v[126:127], -0.5, v[120:121], v[70:71]
	v_add_f64 v[16:17], v[16:17], -v[112:113]
	v_fma_f64 v[112:113], s[14:15], v[16:17], v[126:127]
	v_add_f64 v[28:29], v[28:29], -v[108:109]
	v_add_f64 v[108:109], v[18:19], -v[30:31]
	;; [unrolled: 1-line block ×3, first 2 shown]
	v_fmac_f64_e32 v[126:127], s[2:3], v[16:17]
	v_fmac_f64_e32 v[112:113], s[16:17], v[28:29]
	v_add_f64 v[108:109], v[108:109], v[120:121]
	v_fmac_f64_e32 v[126:127], s[4:5], v[28:29]
	v_fmac_f64_e32 v[112:113], s[6:7], v[108:109]
	;; [unrolled: 1-line block ×3, first 2 shown]
	v_add_f64 v[108:109], v[18:19], v[114:115]
	v_fmac_f64_e32 v[70:71], -0.5, v[108:109]
	v_fma_f64 v[108:109], s[2:3], v[28:29], v[70:71]
	v_fmac_f64_e32 v[70:71], s[14:15], v[28:29]
	v_fmac_f64_e32 v[108:109], s[16:17], v[16:17]
	;; [unrolled: 1-line block ×3, first 2 shown]
	v_add_f64 v[16:17], v[24:25], v[0:1]
	v_add_f64 v[16:17], v[16:17], v[4:5]
	;; [unrolled: 1-line block ×3, first 2 shown]
	v_add_f64 v[18:19], v[30:31], -v[18:19]
	v_add_f64 v[30:31], v[110:111], -v[114:115]
	v_add_f64 v[28:29], v[16:17], v[12:13]
	v_add_f64 v[16:17], v[4:5], v[8:9]
	;; [unrolled: 1-line block ×3, first 2 shown]
	v_fma_f64 v[30:31], -0.5, v[16:17], v[24:25]
	v_add_f64 v[16:17], v[2:3], -v[14:15]
	v_fmac_f64_e32 v[108:109], s[6:7], v[18:19]
	v_fmac_f64_e32 v[70:71], s[6:7], v[18:19]
	v_fma_f64 v[18:19], s[2:3], v[16:17], v[30:31]
	v_add_f64 v[110:111], v[6:7], -v[10:11]
	v_add_f64 v[114:115], v[0:1], -v[4:5]
	;; [unrolled: 1-line block ×3, first 2 shown]
	v_fmac_f64_e32 v[30:31], s[14:15], v[16:17]
	v_fmac_f64_e32 v[18:19], s[4:5], v[110:111]
	v_add_f64 v[114:115], v[114:115], v[120:121]
	v_fmac_f64_e32 v[30:31], s[16:17], v[110:111]
	v_fmac_f64_e32 v[18:19], s[6:7], v[114:115]
	;; [unrolled: 1-line block ×3, first 2 shown]
	v_add_f64 v[114:115], v[0:1], v[12:13]
	v_fmac_f64_e32 v[24:25], -0.5, v[114:115]
	v_fma_f64 v[114:115], s[14:15], v[110:111], v[24:25]
	v_fmac_f64_e32 v[24:25], s[2:3], v[110:111]
	v_fmac_f64_e32 v[114:115], s[4:5], v[16:17]
	;; [unrolled: 1-line block ×3, first 2 shown]
	v_add_f64 v[16:17], v[26:27], v[2:3]
	v_add_f64 v[16:17], v[16:17], v[6:7]
	v_add_f64 v[120:121], v[4:5], -v[0:1]
	v_add_f64 v[136:137], v[8:9], -v[12:13]
	v_add_f64 v[16:17], v[16:17], v[10:11]
	v_add_f64 v[120:121], v[120:121], v[136:137]
	;; [unrolled: 1-line block ×4, first 2 shown]
	v_fmac_f64_e32 v[114:115], s[6:7], v[120:121]
	v_fmac_f64_e32 v[24:25], s[6:7], v[120:121]
	v_fma_f64 v[120:121], -0.5, v[16:17], v[26:27]
	v_add_f64 v[0:1], v[0:1], -v[12:13]
	v_fma_f64 v[136:137], s[14:15], v[0:1], v[120:121]
	v_add_f64 v[4:5], v[4:5], -v[8:9]
	v_add_f64 v[8:9], v[2:3], -v[6:7]
	;; [unrolled: 1-line block ×3, first 2 shown]
	v_fmac_f64_e32 v[120:121], s[2:3], v[0:1]
	v_fmac_f64_e32 v[136:137], s[16:17], v[4:5]
	v_add_f64 v[8:9], v[8:9], v[12:13]
	v_fmac_f64_e32 v[120:121], s[4:5], v[4:5]
	v_fmac_f64_e32 v[136:137], s[6:7], v[8:9]
	;; [unrolled: 1-line block ×3, first 2 shown]
	v_add_f64 v[8:9], v[2:3], v[14:15]
	v_fmac_f64_e32 v[26:27], -0.5, v[8:9]
	v_fma_f64 v[138:139], s[2:3], v[4:5], v[26:27]
	v_add_f64 v[2:3], v[6:7], -v[2:3]
	v_add_f64 v[6:7], v[10:11], -v[14:15]
	v_fmac_f64_e32 v[26:27], s[14:15], v[4:5]
	v_add_f64 v[2:3], v[2:3], v[6:7]
	v_fmac_f64_e32 v[26:27], s[4:5], v[0:1]
	v_fmac_f64_e32 v[138:139], s[16:17], v[0:1]
	;; [unrolled: 1-line block ×3, first 2 shown]
	v_mul_f64 v[144:145], v[24:25], s[22:23]
	v_fmac_f64_e32 v[138:139], s[6:7], v[2:3]
	v_fmac_f64_e32 v[144:145], s[2:3], v[26:27]
	v_mul_f64 v[142:143], v[138:139], s[2:3]
	v_add_f64 v[16:17], v[68:69], v[144:145]
	v_add_f64 v[144:145], v[68:69], -v[144:145]
	v_add_f64 v[68:69], v[56:57], v[92:93]
	v_fmac_f64_e32 v[142:143], s[6:7], v[114:115]
	v_mul_f64 v[148:149], v[18:19], s[16:17]
	v_mul_f64 v[114:115], v[114:115], s[14:15]
	v_add_f64 v[68:69], v[68:69], v[96:97]
	v_mul_f64 v[140:141], v[18:19], s[24:25]
	v_fmac_f64_e32 v[148:149], s[24:25], v[136:137]
	v_fmac_f64_e32 v[114:115], s[6:7], v[138:139]
	v_mul_f64 v[138:139], v[120:121], s[20:21]
	s_waitcnt lgkmcnt(13)
	v_add_f64 v[68:69], v[68:69], v[100:101]
	v_fmac_f64_e32 v[140:141], s[4:5], v[136:137]
	v_mul_f64 v[146:147], v[30:31], s[20:21]
	v_add_f64 v[6:7], v[112:113], v[148:149]
	v_mul_f64 v[136:137], v[26:27], s[22:23]
	v_fmac_f64_e32 v[138:139], s[16:17], v[30:31]
	v_add_f64 v[30:31], v[112:113], -v[148:149]
	s_waitcnt lgkmcnt(11)
	v_add_f64 v[112:113], v[68:69], v[104:105]
	v_add_f64 v[68:69], v[96:97], v[100:101]
	v_fmac_f64_e32 v[146:147], s[4:5], v[120:121]
	v_add_f64 v[2:3], v[108:109], v[114:115]
	v_fmac_f64_e32 v[136:137], s[14:15], v[24:25]
	v_add_f64 v[26:27], v[108:109], -v[114:115]
	v_fma_f64 v[108:109], -0.5, v[68:69], v[56:57]
	v_add_f64 v[68:69], v[94:95], -v[106:107]
	v_add_f64 v[8:9], v[118:119], v[28:29]
	v_add_f64 v[4:5], v[122:123], v[140:141]
	;; [unrolled: 1-line block ×6, first 2 shown]
	v_add_f64 v[120:121], v[118:119], -v[28:29]
	v_add_f64 v[28:29], v[122:123], -v[140:141]
	;; [unrolled: 1-line block ×6, first 2 shown]
	v_fma_f64 v[116:117], s[2:3], v[68:69], v[108:109]
	v_add_f64 v[70:71], v[98:99], -v[102:103]
	v_add_f64 v[110:111], v[92:93], -v[96:97]
	;; [unrolled: 1-line block ×3, first 2 shown]
	v_fmac_f64_e32 v[108:109], s[14:15], v[68:69]
	v_fmac_f64_e32 v[116:117], s[4:5], v[70:71]
	v_add_f64 v[110:111], v[110:111], v[114:115]
	v_fmac_f64_e32 v[108:109], s[16:17], v[70:71]
	v_fmac_f64_e32 v[116:117], s[6:7], v[110:111]
	v_fmac_f64_e32 v[108:109], s[6:7], v[110:111]
	v_add_f64 v[110:111], v[92:93], v[104:105]
	v_fmac_f64_e32 v[56:57], -0.5, v[110:111]
	v_fma_f64 v[118:119], s[14:15], v[70:71], v[56:57]
	v_fmac_f64_e32 v[56:57], s[2:3], v[70:71]
	v_fmac_f64_e32 v[118:119], s[4:5], v[68:69]
	;; [unrolled: 1-line block ×3, first 2 shown]
	v_add_f64 v[68:69], v[58:59], v[94:95]
	v_add_f64 v[68:69], v[68:69], v[98:99]
	v_add_f64 v[110:111], v[96:97], -v[92:93]
	v_add_f64 v[114:115], v[100:101], -v[104:105]
	v_add_f64 v[68:69], v[68:69], v[102:103]
	v_add_f64 v[110:111], v[110:111], v[114:115]
	;; [unrolled: 1-line block ×4, first 2 shown]
	v_fmac_f64_e32 v[118:119], s[6:7], v[110:111]
	v_fmac_f64_e32 v[56:57], s[6:7], v[110:111]
	v_fma_f64 v[110:111], -0.5, v[68:69], v[58:59]
	v_add_f64 v[68:69], v[92:93], -v[104:105]
	v_fma_f64 v[104:105], s[14:15], v[68:69], v[110:111]
	v_add_f64 v[70:71], v[96:97], -v[100:101]
	v_add_f64 v[92:93], v[94:95], -v[98:99]
	;; [unrolled: 1-line block ×3, first 2 shown]
	v_fmac_f64_e32 v[110:111], s[2:3], v[68:69]
	v_fmac_f64_e32 v[104:105], s[16:17], v[70:71]
	v_add_f64 v[92:93], v[92:93], v[96:97]
	v_fmac_f64_e32 v[110:111], s[4:5], v[70:71]
	v_fmac_f64_e32 v[104:105], s[6:7], v[92:93]
	;; [unrolled: 1-line block ×3, first 2 shown]
	v_add_f64 v[92:93], v[94:95], v[106:107]
	v_fmac_f64_e32 v[58:59], -0.5, v[92:93]
	v_fma_f64 v[96:97], s[2:3], v[70:71], v[58:59]
	v_fmac_f64_e32 v[58:59], s[14:15], v[70:71]
	v_fmac_f64_e32 v[96:97], s[16:17], v[68:69]
	;; [unrolled: 1-line block ×3, first 2 shown]
	v_add_f64 v[68:69], v[88:89], v[48:49]
	v_add_f64 v[92:93], v[98:99], -v[94:95]
	v_add_f64 v[94:95], v[102:103], -v[106:107]
	v_add_f64 v[68:69], v[68:69], v[52:53]
	v_add_f64 v[92:93], v[92:93], v[94:95]
	;; [unrolled: 1-line block ×3, first 2 shown]
	v_fmac_f64_e32 v[96:97], s[6:7], v[92:93]
	v_fmac_f64_e32 v[58:59], s[6:7], v[92:93]
	s_waitcnt lgkmcnt(10)
	v_add_f64 v[92:93], v[68:69], v[64:65]
	v_add_f64 v[68:69], v[52:53], v[60:61]
	v_fma_f64 v[94:95], -0.5, v[68:69], v[88:89]
	v_add_f64 v[68:69], v[50:51], -v[66:67]
	v_fma_f64 v[70:71], s[2:3], v[68:69], v[94:95]
	v_add_f64 v[98:99], v[54:55], -v[62:63]
	v_add_f64 v[100:101], v[48:49], -v[52:53]
	v_add_f64 v[102:103], v[64:65], -v[60:61]
	v_fmac_f64_e32 v[94:95], s[14:15], v[68:69]
	v_fmac_f64_e32 v[70:71], s[4:5], v[98:99]
	v_add_f64 v[100:101], v[100:101], v[102:103]
	v_fmac_f64_e32 v[94:95], s[16:17], v[98:99]
	v_fmac_f64_e32 v[70:71], s[6:7], v[100:101]
	;; [unrolled: 1-line block ×3, first 2 shown]
	v_add_f64 v[100:101], v[48:49], v[64:65]
	v_fmac_f64_e32 v[88:89], -0.5, v[100:101]
	v_fma_f64 v[100:101], s[14:15], v[98:99], v[88:89]
	v_fmac_f64_e32 v[88:89], s[2:3], v[98:99]
	v_fmac_f64_e32 v[100:101], s[4:5], v[68:69]
	v_fmac_f64_e32 v[88:89], s[16:17], v[68:69]
	v_add_f64 v[68:69], v[90:91], v[50:51]
	v_add_f64 v[68:69], v[68:69], v[54:55]
	v_add_f64 v[102:103], v[52:53], -v[48:49]
	v_add_f64 v[106:107], v[60:61], -v[64:65]
	v_add_f64 v[68:69], v[68:69], v[62:63]
	v_add_f64 v[102:103], v[102:103], v[106:107]
	;; [unrolled: 1-line block ×4, first 2 shown]
	v_fmac_f64_e32 v[100:101], s[6:7], v[102:103]
	v_fmac_f64_e32 v[88:89], s[6:7], v[102:103]
	v_fma_f64 v[102:103], -0.5, v[68:69], v[90:91]
	v_add_f64 v[48:49], v[48:49], -v[64:65]
	v_fma_f64 v[106:107], s[14:15], v[48:49], v[102:103]
	v_add_f64 v[52:53], v[52:53], -v[60:61]
	v_add_f64 v[60:61], v[50:51], -v[54:55]
	;; [unrolled: 1-line block ×3, first 2 shown]
	v_fmac_f64_e32 v[102:103], s[2:3], v[48:49]
	v_fmac_f64_e32 v[106:107], s[16:17], v[52:53]
	v_add_f64 v[60:61], v[60:61], v[64:65]
	v_fmac_f64_e32 v[102:103], s[4:5], v[52:53]
	v_fmac_f64_e32 v[106:107], s[6:7], v[60:61]
	;; [unrolled: 1-line block ×3, first 2 shown]
	v_add_f64 v[60:61], v[50:51], v[66:67]
	v_fmac_f64_e32 v[90:91], -0.5, v[60:61]
	v_fma_f64 v[130:131], s[2:3], v[52:53], v[90:91]
	v_add_f64 v[50:51], v[54:55], -v[50:51]
	v_add_f64 v[54:55], v[62:63], -v[66:67]
	v_fmac_f64_e32 v[130:131], s[16:17], v[48:49]
	v_add_f64 v[50:51], v[50:51], v[54:55]
	v_fmac_f64_e32 v[130:131], s[6:7], v[50:51]
	v_fmac_f64_e32 v[90:91], s[14:15], v[52:53]
	v_add_f64 v[14:15], v[126:127], v[138:139]
	v_add_f64 v[126:127], v[126:127], -v[138:139]
	v_fmac_f64_e32 v[90:91], s[4:5], v[48:49]
	v_mul_f64 v[138:139], v[70:71], s[24:25]
	v_mul_f64 v[140:141], v[130:131], s[2:3]
	v_fmac_f64_e32 v[90:91], s[6:7], v[50:51]
	v_fmac_f64_e32 v[138:139], s[4:5], v[106:107]
	;; [unrolled: 1-line block ×3, first 2 shown]
	v_mul_f64 v[148:149], v[94:95], s[20:21]
	v_mul_f64 v[150:151], v[70:71], s[16:17]
	;; [unrolled: 1-line block ×3, first 2 shown]
	v_add_f64 v[60:61], v[112:113], v[92:93]
	v_add_f64 v[52:53], v[116:117], v[138:139]
	v_mul_f64 v[142:143], v[88:89], s[22:23]
	v_fmac_f64_e32 v[148:149], s[4:5], v[102:103]
	v_add_f64 v[62:63], v[114:115], v[98:99]
	v_fmac_f64_e32 v[150:151], s[24:25], v[106:107]
	v_fmac_f64_e32 v[100:101], s[6:7], v[130:131]
	v_mul_f64 v[106:107], v[90:91], s[22:23]
	v_mul_f64 v[102:103], v[102:103], s[20:21]
	v_add_f64 v[136:137], v[112:113], -v[92:93]
	v_add_f64 v[92:93], v[116:117], -v[138:139]
	v_add_f64 v[138:139], v[114:115], -v[98:99]
	s_waitcnt lgkmcnt(3)
	v_add_f64 v[98:99], v[76:77], v[80:81]
	v_fmac_f64_e32 v[142:143], s[2:3], v[90:91]
	v_add_f64 v[50:51], v[96:97], v[100:101]
	v_fmac_f64_e32 v[106:107], s[14:15], v[88:89]
	v_fmac_f64_e32 v[102:103], s[16:17], v[94:95]
	v_add_f64 v[90:91], v[96:97], -v[100:101]
	v_fma_f64 v[98:99], -0.5, v[98:99], v[20:21]
	s_waitcnt lgkmcnt(1)
	v_add_f64 v[100:101], v[74:75], -v[86:87]
	v_add_f64 v[48:49], v[118:119], v[140:141]
	v_add_f64 v[68:69], v[56:57], v[142:143]
	;; [unrolled: 1-line block ×6, first 2 shown]
	v_add_f64 v[88:89], v[118:119], -v[140:141]
	v_add_f64 v[140:141], v[56:57], -v[142:143]
	;; [unrolled: 1-line block ×6, first 2 shown]
	v_fma_f64 v[106:107], s[2:3], v[100:101], v[98:99]
	v_add_f64 v[102:103], v[78:79], -v[82:83]
	v_add_f64 v[104:105], v[72:73], -v[76:77]
	;; [unrolled: 1-line block ×3, first 2 shown]
	v_fmac_f64_e32 v[98:99], s[14:15], v[100:101]
	v_fmac_f64_e32 v[106:107], s[4:5], v[102:103]
	v_add_f64 v[104:105], v[104:105], v[108:109]
	v_fmac_f64_e32 v[98:99], s[16:17], v[102:103]
	v_fmac_f64_e32 v[106:107], s[6:7], v[104:105]
	;; [unrolled: 1-line block ×3, first 2 shown]
	v_add_f64 v[104:105], v[72:73], v[84:85]
	v_add_f64 v[96:97], v[20:21], v[72:73]
	v_fmac_f64_e32 v[20:21], -0.5, v[104:105]
	v_fma_f64 v[110:111], s[14:15], v[102:103], v[20:21]
	v_fmac_f64_e32 v[20:21], s[2:3], v[102:103]
	v_fmac_f64_e32 v[110:111], s[4:5], v[100:101]
	;; [unrolled: 1-line block ×3, first 2 shown]
	v_add_f64 v[100:101], v[22:23], v[74:75]
	v_add_f64 v[104:105], v[76:77], -v[72:73]
	v_add_f64 v[108:109], v[80:81], -v[84:85]
	v_add_f64 v[100:101], v[100:101], v[78:79]
	v_add_f64 v[104:105], v[104:105], v[108:109]
	;; [unrolled: 1-line block ×4, first 2 shown]
	v_fmac_f64_e32 v[110:111], s[6:7], v[104:105]
	v_fmac_f64_e32 v[20:21], s[6:7], v[104:105]
	v_add_f64 v[104:105], v[100:101], v[86:87]
	v_add_f64 v[100:101], v[78:79], v[82:83]
	;; [unrolled: 1-line block ×3, first 2 shown]
	v_fma_f64 v[100:101], -0.5, v[100:101], v[22:23]
	v_add_f64 v[72:73], v[72:73], -v[84:85]
	v_add_f64 v[96:97], v[96:97], v[84:85]
	v_fma_f64 v[108:109], s[14:15], v[72:73], v[100:101]
	v_add_f64 v[76:77], v[76:77], -v[80:81]
	v_add_f64 v[80:81], v[74:75], -v[78:79]
	;; [unrolled: 1-line block ×3, first 2 shown]
	v_fmac_f64_e32 v[100:101], s[2:3], v[72:73]
	v_fmac_f64_e32 v[108:109], s[16:17], v[76:77]
	v_add_f64 v[80:81], v[80:81], v[84:85]
	v_fmac_f64_e32 v[100:101], s[4:5], v[76:77]
	v_fmac_f64_e32 v[108:109], s[6:7], v[80:81]
	;; [unrolled: 1-line block ×3, first 2 shown]
	v_add_f64 v[80:81], v[74:75], v[86:87]
	v_fmac_f64_e32 v[22:23], -0.5, v[80:81]
	v_fma_f64 v[112:113], s[2:3], v[76:77], v[22:23]
	v_fmac_f64_e32 v[22:23], s[14:15], v[76:77]
	v_fmac_f64_e32 v[112:113], s[16:17], v[72:73]
	;; [unrolled: 1-line block ×3, first 2 shown]
	v_add_f64 v[72:73], v[132:133], v[32:33]
	v_add_f64 v[72:73], v[72:73], v[36:37]
	;; [unrolled: 1-line block ×3, first 2 shown]
	v_add_f64 v[74:75], v[78:79], -v[74:75]
	v_add_f64 v[78:79], v[82:83], -v[86:87]
	s_waitcnt lgkmcnt(0)
	v_add_f64 v[76:77], v[72:73], v[44:45]
	v_add_f64 v[72:73], v[36:37], v[40:41]
	;; [unrolled: 1-line block ×3, first 2 shown]
	v_fma_f64 v[78:79], -0.5, v[72:73], v[132:133]
	v_add_f64 v[72:73], v[34:35], -v[46:47]
	v_fmac_f64_e32 v[112:113], s[6:7], v[74:75]
	v_fmac_f64_e32 v[22:23], s[6:7], v[74:75]
	v_fma_f64 v[74:75], s[2:3], v[72:73], v[78:79]
	v_add_f64 v[80:81], v[38:39], -v[42:43]
	v_add_f64 v[82:83], v[32:33], -v[36:37]
	;; [unrolled: 1-line block ×3, first 2 shown]
	v_fmac_f64_e32 v[78:79], s[14:15], v[72:73]
	v_fmac_f64_e32 v[74:75], s[4:5], v[80:81]
	v_add_f64 v[82:83], v[82:83], v[84:85]
	v_fmac_f64_e32 v[78:79], s[16:17], v[80:81]
	v_fmac_f64_e32 v[74:75], s[6:7], v[82:83]
	v_fmac_f64_e32 v[78:79], s[6:7], v[82:83]
	v_add_f64 v[82:83], v[32:33], v[44:45]
	v_fmac_f64_e32 v[132:133], -0.5, v[82:83]
	v_fma_f64 v[84:85], s[14:15], v[80:81], v[132:133]
	v_fmac_f64_e32 v[132:133], s[2:3], v[80:81]
	v_fmac_f64_e32 v[84:85], s[4:5], v[72:73]
	;; [unrolled: 1-line block ×3, first 2 shown]
	v_add_f64 v[72:73], v[134:135], v[34:35]
	v_add_f64 v[82:83], v[36:37], -v[32:33]
	v_add_f64 v[86:87], v[40:41], -v[44:45]
	v_add_f64 v[72:73], v[72:73], v[38:39]
	v_add_f64 v[82:83], v[82:83], v[86:87]
	;; [unrolled: 1-line block ×3, first 2 shown]
	v_fmac_f64_e32 v[84:85], s[6:7], v[82:83]
	v_fmac_f64_e32 v[132:133], s[6:7], v[82:83]
	v_add_f64 v[82:83], v[72:73], v[46:47]
	v_add_f64 v[72:73], v[38:39], v[42:43]
	v_fma_f64 v[80:81], -0.5, v[72:73], v[134:135]
	v_add_f64 v[32:33], v[32:33], -v[44:45]
	v_fma_f64 v[86:87], s[14:15], v[32:33], v[80:81]
	v_add_f64 v[36:37], v[36:37], -v[40:41]
	v_add_f64 v[40:41], v[34:35], -v[38:39]
	;; [unrolled: 1-line block ×3, first 2 shown]
	v_fmac_f64_e32 v[80:81], s[2:3], v[32:33]
	v_fmac_f64_e32 v[86:87], s[16:17], v[36:37]
	v_add_f64 v[40:41], v[40:41], v[44:45]
	v_fmac_f64_e32 v[80:81], s[4:5], v[36:37]
	v_fmac_f64_e32 v[86:87], s[6:7], v[40:41]
	;; [unrolled: 1-line block ×3, first 2 shown]
	v_add_f64 v[40:41], v[34:35], v[46:47]
	v_fmac_f64_e32 v[134:135], -0.5, v[40:41]
	v_fma_f64 v[102:103], s[2:3], v[36:37], v[134:135]
	v_add_f64 v[34:35], v[38:39], -v[34:35]
	v_add_f64 v[38:39], v[42:43], -v[46:47]
	v_fmac_f64_e32 v[134:135], s[14:15], v[36:37]
	v_fmac_f64_e32 v[102:103], s[16:17], v[32:33]
	v_add_f64 v[34:35], v[34:35], v[38:39]
	v_fmac_f64_e32 v[134:135], s[4:5], v[32:33]
	v_fmac_f64_e32 v[102:103], s[6:7], v[34:35]
	;; [unrolled: 1-line block ×3, first 2 shown]
	v_mul_f64 v[118:119], v[132:133], s[22:23]
	v_mul_f64 v[150:151], v[84:85], s[14:15]
	v_mul_f64 v[116:117], v[102:103], s[2:3]
	v_fmac_f64_e32 v[118:119], s[2:3], v[134:135]
	v_mul_f64 v[130:131], v[78:79], s[20:21]
	v_fmac_f64_e32 v[150:151], s[6:7], v[102:103]
	v_mul_f64 v[134:135], v[134:135], s[22:23]
	v_mul_f64 v[102:103], v[80:81], s[20:21]
	v_fmac_f64_e32 v[130:131], s[4:5], v[80:81]
	v_fmac_f64_e32 v[134:135], s[14:15], v[132:133]
	;; [unrolled: 1-line block ×3, first 2 shown]
	v_add_f64 v[40:41], v[96:97], v[76:77]
	v_mul_f64 v[114:115], v[74:75], s[24:25]
	v_fmac_f64_e32 v[116:117], s[6:7], v[84:85]
	v_add_f64 v[72:73], v[20:21], v[118:119]
	v_add_f64 v[44:45], v[98:99], v[130:131]
	v_mul_f64 v[148:149], v[74:75], s[16:17]
	v_add_f64 v[74:75], v[22:23], v[134:135]
	v_add_f64 v[46:47], v[100:101], v[102:103]
	v_add_f64 v[84:85], v[96:97], -v[76:77]
	v_add_f64 v[96:97], v[20:21], -v[118:119]
	;; [unrolled: 1-line block ×5, first 2 shown]
	v_mul_lo_u16_e32 v100, 10, v247
	v_lshl_add_u32 v236, v100, 4, v246
	s_waitcnt lgkmcnt(0)
	; wave barrier
	ds_write_b128 v236, v[8:11]
	ds_write_b128 v236, v[4:7] offset:16
	ds_write_b128 v236, v[0:3] offset:32
	;; [unrolled: 1-line block ×9, first 2 shown]
	v_mul_u32_u24_e32 v0, 10, v250
	v_fmac_f64_e32 v[114:115], s[4:5], v[86:87]
	v_fmac_f64_e32 v[148:149], s[24:25], v[86:87]
	v_lshl_add_u32 v243, v0, 4, v246
	v_mul_u32_u24_e32 v0, 10, v248
	v_add_f64 v[36:37], v[106:107], v[114:115]
	v_add_f64 v[32:33], v[110:111], v[116:117]
	;; [unrolled: 1-line block ×5, first 2 shown]
	v_add_f64 v[80:81], v[106:107], -v[114:115]
	v_add_f64 v[76:77], v[110:111], -v[116:117]
	;; [unrolled: 1-line block ×5, first 2 shown]
	v_lshl_add_u32 v242, v0, 4, v246
	v_lshlrev_b32_e32 v116, 6, v247
	ds_write_b128 v243, v[60:63]
	ds_write_b128 v243, v[52:55] offset:16
	ds_write_b128 v243, v[48:51] offset:32
	;; [unrolled: 1-line block ×9, first 2 shown]
	ds_write_b128 v242, v[40:43]
	ds_write_b128 v242, v[36:39] offset:16
	ds_write_b128 v242, v[32:35] offset:32
	;; [unrolled: 1-line block ×9, first 2 shown]
	s_waitcnt lgkmcnt(0)
	; wave barrier
	s_waitcnt lgkmcnt(0)
	ds_read_b128 v[16:19], v237
	ds_read_b128 v[112:115], v237 offset:480
	ds_read_b128 v[108:111], v237 offset:960
	;; [unrolled: 1-line block ×29, first 2 shown]
	global_load_dwordx4 v[238:241], v116, s[10:11] offset:48
	global_load_dwordx4 v[204:207], v116, s[10:11] offset:32
	;; [unrolled: 1-line block ×3, first 2 shown]
	global_load_dwordx4 v[144:147], v116, s[10:11]
	s_waitcnt vmcnt(3) lgkmcnt(14)
	v_mul_f64 v[118:119], v[100:101], v[240:241]
	s_waitcnt vmcnt(2)
	v_mul_f64 v[156:157], v[72:73], v[206:207]
	v_mul_f64 v[162:163], v[68:69], v[240:241]
	s_waitcnt vmcnt(0)
	v_mul_f64 v[116:117], v[114:115], v[146:147]
	v_fma_f64 v[158:159], v[112:113], v[144:145], -v[116:117]
	v_mul_f64 v[112:113], v[112:113], v[146:147]
	v_fmac_f64_e32 v[112:113], v[114:115], v[144:145]
	v_mul_f64 v[114:115], v[110:111], v[178:179]
	v_fma_f64 v[160:161], v[108:109], v[176:177], -v[114:115]
	v_mul_f64 v[108:109], v[108:109], v[178:179]
	v_fmac_f64_e32 v[108:109], v[110:111], v[176:177]
	v_mul_f64 v[110:111], v[106:107], v[206:207]
	v_fma_f64 v[166:167], v[104:105], v[204:205], -v[110:111]
	v_mul_f64 v[114:115], v[104:105], v[206:207]
	v_mul_f64 v[104:105], v[102:103], v[240:241]
	v_fma_f64 v[172:173], v[100:101], v[238:239], -v[104:105]
	v_lshlrev_b32_e32 v100, 6, v250
	global_load_dwordx4 v[184:187], v100, s[10:11] offset:48
	global_load_dwordx4 v[136:139], v100, s[10:11] offset:32
	;; [unrolled: 1-line block ×3, first 2 shown]
	global_load_dwordx4 v[148:151], v100, s[10:11]
	v_mul_f64 v[110:111], v[80:81], v[146:147]
	v_mul_f64 v[116:117], v[76:77], v[178:179]
	v_fmac_f64_e32 v[118:119], v[102:103], v[238:239]
	v_fmac_f64_e32 v[114:115], v[106:107], v[204:205]
	;; [unrolled: 1-line block ×6, first 2 shown]
	s_waitcnt vmcnt(3)
	v_mul_f64 v[182:183], v[84:85], v[186:187]
	s_waitcnt vmcnt(2)
	v_mul_f64 v[180:181], v[88:89], v[138:139]
	;; [unrolled: 2-line block ×4, first 2 shown]
	v_fma_f64 v[188:189], v[96:97], v[148:149], -v[100:101]
	v_mul_f64 v[120:121], v[96:97], v[150:151]
	v_mul_f64 v[96:97], v[94:95], v[142:143]
	v_fma_f64 v[190:191], v[92:93], v[140:141], -v[96:97]
	v_mul_f64 v[92:93], v[90:91], v[138:139]
	v_fma_f64 v[192:193], v[88:89], v[136:137], -v[92:93]
	v_mul_f64 v[88:89], v[86:87], v[186:187]
	v_fma_f64 v[194:195], v[84:85], v[184:185], -v[88:89]
	v_mul_f64 v[84:85], v[82:83], v[146:147]
	v_fma_f64 v[164:165], v[80:81], v[144:145], -v[84:85]
	v_mul_f64 v[80:81], v[78:79], v[178:179]
	v_fma_f64 v[168:169], v[76:77], v[176:177], -v[80:81]
	v_mul_f64 v[76:77], v[74:75], v[206:207]
	v_fma_f64 v[170:171], v[72:73], v[204:205], -v[76:77]
	v_mul_f64 v[72:73], v[70:71], v[240:241]
	v_fma_f64 v[174:175], v[68:69], v[238:239], -v[72:73]
	s_waitcnt lgkmcnt(13)
	v_mul_f64 v[68:69], v[66:67], v[150:151]
	v_fma_f64 v[100:101], v[64:65], v[148:149], -v[68:69]
	v_mul_f64 v[92:93], v[64:65], v[150:151]
	s_waitcnt lgkmcnt(12)
	v_mul_f64 v[64:65], v[62:63], v[142:143]
	v_fmac_f64_e32 v[122:123], v[94:95], v[140:141]
	v_fma_f64 v[102:103], v[60:61], v[140:141], -v[64:65]
	v_mul_f64 v[94:95], v[60:61], v[142:143]
	s_waitcnt lgkmcnt(11)
	v_mul_f64 v[60:61], v[58:59], v[138:139]
	v_fma_f64 v[104:105], v[56:57], v[136:137], -v[60:61]
	v_mul_f64 v[96:97], v[56:57], v[138:139]
	s_waitcnt lgkmcnt(10)
	v_mul_f64 v[56:57], v[54:55], v[186:187]
	v_fmac_f64_e32 v[120:121], v[98:99], v[148:149]
	v_fma_f64 v[106:107], v[52:53], v[184:185], -v[56:57]
	v_mul_f64 v[98:99], v[52:53], v[186:187]
	v_mul_lo_u16_sdwa v52, v129, s26 dst_sel:DWORD dst_unused:UNUSED_PAD src0_sel:BYTE_0 src1_sel:DWORD
	v_lshrrev_b16_e32 v52, 11, v52
	v_mul_lo_u16_e32 v52, 10, v52
	v_sub_u16_e32 v124, v129, v52
	v_lshlrev_b16_e32 v52, 2, v124
	v_and_b32_e32 v52, 0xfc, v52
	v_lshlrev_b32_e32 v52, 4, v52
	v_fmac_f64_e32 v[92:93], v[66:67], v[148:149]
	v_fmac_f64_e32 v[94:95], v[62:63], v[140:141]
	;; [unrolled: 1-line block ×4, first 2 shown]
	global_load_dwordx4 v[54:57], v52, s[10:11] offset:48
	global_load_dwordx4 v[58:61], v52, s[10:11] offset:32
	;; [unrolled: 1-line block ×3, first 2 shown]
	global_load_dwordx4 v[66:69], v52, s[10:11]
	v_fmac_f64_e32 v[180:181], v[90:91], v[136:137]
	v_fmac_f64_e32 v[182:183], v[86:87], v[184:185]
	s_waitcnt vmcnt(3) lgkmcnt(5)
	v_mul_f64 v[214:215], v[36:37], v[56:57]
	s_waitcnt vmcnt(2)
	v_mul_f64 v[202:203], v[40:41], v[60:61]
	s_waitcnt vmcnt(1)
	;; [unrolled: 2-line block ×3, first 2 shown]
	v_mul_f64 v[52:53], v[50:51], v[68:69]
	v_fma_f64 v[200:201], v[48:49], v[66:67], -v[52:53]
	v_mul_f64 v[196:197], v[48:49], v[68:69]
	v_mul_f64 v[48:49], v[46:47], v[64:65]
	v_fma_f64 v[212:213], v[44:45], v[62:63], -v[48:49]
	v_mul_f64 v[44:45], v[42:43], v[60:61]
	v_fma_f64 v[218:219], v[40:41], v[58:59], -v[44:45]
	;; [unrolled: 2-line block ×3, first 2 shown]
	v_mul_lo_u16_sdwa v36, v249, s26 dst_sel:DWORD dst_unused:UNUSED_PAD src0_sel:BYTE_0 src1_sel:DWORD
	v_lshrrev_b16_e32 v36, 11, v36
	v_mul_lo_u16_e32 v36, 10, v36
	v_sub_u16_e32 v125, v249, v36
	v_lshlrev_b16_e32 v36, 2, v125
	v_and_b32_e32 v36, 0xfc, v36
	v_lshlrev_b32_e32 v36, 4, v36
	v_fmac_f64_e32 v[196:197], v[50:51], v[66:67]
	v_fmac_f64_e32 v[198:199], v[46:47], v[62:63]
	;; [unrolled: 1-line block ×4, first 2 shown]
	global_load_dwordx4 v[38:41], v36, s[10:11] offset:48
	global_load_dwordx4 v[42:45], v36, s[10:11] offset:32
	;; [unrolled: 1-line block ×3, first 2 shown]
	global_load_dwordx4 v[50:53], v36, s[10:11]
	v_accvgpr_write_b32 a137, v61
	v_accvgpr_write_b32 a136, v60
	;; [unrolled: 1-line block ×16, first 2 shown]
	s_waitcnt lgkmcnt(0)
	; wave barrier
	s_waitcnt vmcnt(3) lgkmcnt(0)
	v_mul_f64 v[230:231], v[20:21], v[40:41]
	s_waitcnt vmcnt(2)
	v_mul_f64 v[226:227], v[24:25], v[44:45]
	s_waitcnt vmcnt(1)
	;; [unrolled: 2-line block ×3, first 2 shown]
	v_mul_f64 v[36:37], v[34:35], v[52:53]
	v_fma_f64 v[224:225], v[32:33], v[50:51], -v[36:37]
	v_mul_f64 v[216:217], v[32:33], v[52:53]
	v_mul_f64 v[32:33], v[30:31], v[48:49]
	v_fma_f64 v[228:229], v[28:29], v[46:47], -v[32:33]
	v_mul_f64 v[28:29], v[26:27], v[44:45]
	v_fma_f64 v[232:233], v[24:25], v[42:43], -v[28:29]
	;; [unrolled: 2-line block ×3, first 2 shown]
	v_add_f64 v[20:21], v[16:17], v[158:159]
	v_add_f64 v[20:21], v[20:21], v[160:161]
	;; [unrolled: 1-line block ×5, first 2 shown]
	v_fma_f64 v[60:61], -0.5, v[20:21], v[16:17]
	v_add_f64 v[20:21], v[112:113], -v[118:119]
	v_fmac_f64_e32 v[226:227], v[26:27], v[42:43]
	v_fmac_f64_e32 v[230:231], v[22:23], v[38:39]
	v_fma_f64 v[80:81], s[2:3], v[20:21], v[60:61]
	v_add_f64 v[22:23], v[108:109], -v[114:115]
	v_add_f64 v[24:25], v[158:159], -v[160:161]
	v_add_f64 v[26:27], v[172:173], -v[166:167]
	v_fmac_f64_e32 v[60:61], s[14:15], v[20:21]
	v_fmac_f64_e32 v[80:81], s[4:5], v[22:23]
	v_add_f64 v[24:25], v[24:25], v[26:27]
	v_fmac_f64_e32 v[60:61], s[16:17], v[22:23]
	v_fmac_f64_e32 v[80:81], s[6:7], v[24:25]
	v_fmac_f64_e32 v[60:61], s[6:7], v[24:25]
	v_add_f64 v[24:25], v[158:159], v[172:173]
	v_fmac_f64_e32 v[16:17], -0.5, v[24:25]
	v_fma_f64 v[72:73], s[14:15], v[22:23], v[16:17]
	v_fmac_f64_e32 v[16:17], s[2:3], v[22:23]
	v_fmac_f64_e32 v[72:73], s[4:5], v[20:21]
	v_fmac_f64_e32 v[16:17], s[16:17], v[20:21]
	v_add_f64 v[20:21], v[18:19], v[112:113]
	v_add_f64 v[20:21], v[20:21], v[108:109]
	v_add_f64 v[20:21], v[20:21], v[114:115]
	v_add_f64 v[24:25], v[160:161], -v[158:159]
	v_add_f64 v[26:27], v[166:167], -v[172:173]
	v_add_f64 v[90:91], v[20:21], v[118:119]
	v_add_f64 v[20:21], v[108:109], v[114:115]
	v_add_f64 v[24:25], v[24:25], v[26:27]
	v_fma_f64 v[62:63], -0.5, v[20:21], v[18:19]
	v_add_f64 v[20:21], v[158:159], -v[172:173]
	v_fmac_f64_e32 v[72:73], s[6:7], v[24:25]
	v_fmac_f64_e32 v[16:17], s[6:7], v[24:25]
	v_fma_f64 v[82:83], s[14:15], v[20:21], v[62:63]
	v_add_f64 v[22:23], v[160:161], -v[166:167]
	v_add_f64 v[24:25], v[112:113], -v[108:109]
	v_add_f64 v[26:27], v[118:119], -v[114:115]
	v_fmac_f64_e32 v[62:63], s[2:3], v[20:21]
	v_fmac_f64_e32 v[82:83], s[16:17], v[22:23]
	v_add_f64 v[24:25], v[24:25], v[26:27]
	v_fmac_f64_e32 v[62:63], s[4:5], v[22:23]
	v_fmac_f64_e32 v[82:83], s[6:7], v[24:25]
	v_fmac_f64_e32 v[62:63], s[6:7], v[24:25]
	v_add_f64 v[24:25], v[112:113], v[118:119]
	v_fmac_f64_e32 v[18:19], -0.5, v[24:25]
	v_fma_f64 v[74:75], s[2:3], v[22:23], v[18:19]
	v_fmac_f64_e32 v[18:19], s[14:15], v[22:23]
	v_fmac_f64_e32 v[74:75], s[16:17], v[20:21]
	v_fmac_f64_e32 v[18:19], s[4:5], v[20:21]
	v_add_f64 v[20:21], v[12:13], v[188:189]
	v_add_f64 v[20:21], v[20:21], v[190:191]
	v_add_f64 v[20:21], v[20:21], v[192:193]
	v_add_f64 v[24:25], v[108:109], -v[112:113]
	v_add_f64 v[26:27], v[114:115], -v[118:119]
	v_add_f64 v[84:85], v[20:21], v[194:195]
	v_add_f64 v[20:21], v[190:191], v[192:193]
	v_add_f64 v[24:25], v[24:25], v[26:27]
	;; [unrolled: 28-line block ×3, first 2 shown]
	v_fma_f64 v[58:59], -0.5, v[20:21], v[14:15]
	v_add_f64 v[20:21], v[188:189], -v[194:195]
	v_fmac_f64_e32 v[68:69], s[6:7], v[24:25]
	v_fmac_f64_e32 v[12:13], s[6:7], v[24:25]
	v_fma_f64 v[78:79], s[14:15], v[20:21], v[58:59]
	v_add_f64 v[22:23], v[190:191], -v[192:193]
	v_add_f64 v[24:25], v[120:121], -v[122:123]
	;; [unrolled: 1-line block ×3, first 2 shown]
	v_fmac_f64_e32 v[58:59], s[2:3], v[20:21]
	v_fmac_f64_e32 v[78:79], s[16:17], v[22:23]
	v_add_f64 v[24:25], v[24:25], v[26:27]
	v_fmac_f64_e32 v[58:59], s[4:5], v[22:23]
	v_fmac_f64_e32 v[78:79], s[6:7], v[24:25]
	;; [unrolled: 1-line block ×3, first 2 shown]
	v_add_f64 v[24:25], v[120:121], v[182:183]
	v_fmac_f64_e32 v[14:15], -0.5, v[24:25]
	v_fma_f64 v[70:71], s[2:3], v[22:23], v[14:15]
	v_fmac_f64_e32 v[14:15], s[14:15], v[22:23]
	v_fmac_f64_e32 v[70:71], s[16:17], v[20:21]
	;; [unrolled: 1-line block ×3, first 2 shown]
	v_add_f64 v[20:21], v[8:9], v[164:165]
	v_add_f64 v[20:21], v[20:21], v[168:169]
	;; [unrolled: 1-line block ×3, first 2 shown]
	v_accvgpr_write_b32 a157, v41
	v_add_f64 v[24:25], v[122:123], -v[120:121]
	v_add_f64 v[26:27], v[180:181], -v[182:183]
	v_add_f64 v[64:65], v[20:21], v[174:175]
	v_add_f64 v[20:21], v[168:169], v[170:171]
	v_accvgpr_write_b32 a145, v53
	v_accvgpr_write_b32 a156, v40
	;; [unrolled: 1-line block ×4, first 2 shown]
	v_add_f64 v[24:25], v[24:25], v[26:27]
	v_fma_f64 v[40:41], -0.5, v[20:21], v[8:9]
	v_add_f64 v[20:21], v[110:111], -v[162:163]
	v_accvgpr_write_b32 a144, v52
	v_accvgpr_write_b32 a143, v51
	;; [unrolled: 1-line block ×3, first 2 shown]
	v_fmac_f64_e32 v[70:71], s[6:7], v[24:25]
	v_fmac_f64_e32 v[14:15], s[6:7], v[24:25]
	v_fma_f64 v[52:53], s[2:3], v[20:21], v[40:41]
	v_add_f64 v[22:23], v[116:117], -v[156:157]
	v_add_f64 v[24:25], v[164:165], -v[168:169]
	;; [unrolled: 1-line block ×3, first 2 shown]
	v_fmac_f64_e32 v[40:41], s[14:15], v[20:21]
	v_fmac_f64_e32 v[52:53], s[4:5], v[22:23]
	v_add_f64 v[24:25], v[24:25], v[26:27]
	v_fmac_f64_e32 v[40:41], s[16:17], v[22:23]
	v_fmac_f64_e32 v[52:53], s[6:7], v[24:25]
	;; [unrolled: 1-line block ×3, first 2 shown]
	v_add_f64 v[24:25], v[164:165], v[174:175]
	v_accvgpr_write_b32 a149, v49
	v_fmac_f64_e32 v[8:9], -0.5, v[24:25]
	v_accvgpr_write_b32 a148, v48
	v_accvgpr_write_b32 a147, v47
	;; [unrolled: 1-line block ×3, first 2 shown]
	v_fma_f64 v[48:49], s[14:15], v[22:23], v[8:9]
	v_fmac_f64_e32 v[8:9], s[2:3], v[22:23]
	v_fmac_f64_e32 v[48:49], s[4:5], v[20:21]
	;; [unrolled: 1-line block ×3, first 2 shown]
	v_add_f64 v[20:21], v[10:11], v[110:111]
	v_add_f64 v[20:21], v[20:21], v[116:117]
	;; [unrolled: 1-line block ×3, first 2 shown]
	v_accvgpr_write_b32 a153, v45
	v_add_f64 v[24:25], v[168:169], -v[164:165]
	v_add_f64 v[26:27], v[170:171], -v[174:175]
	v_add_f64 v[66:67], v[20:21], v[162:163]
	v_add_f64 v[20:21], v[116:117], v[156:157]
	v_accvgpr_write_b32 a152, v44
	v_accvgpr_write_b32 a151, v43
	;; [unrolled: 1-line block ×3, first 2 shown]
	v_add_f64 v[24:25], v[24:25], v[26:27]
	v_fma_f64 v[42:43], -0.5, v[20:21], v[10:11]
	v_add_f64 v[20:21], v[164:165], -v[174:175]
	v_fmac_f64_e32 v[48:49], s[6:7], v[24:25]
	v_fmac_f64_e32 v[8:9], s[6:7], v[24:25]
	v_fma_f64 v[54:55], s[14:15], v[20:21], v[42:43]
	v_add_f64 v[22:23], v[168:169], -v[170:171]
	v_add_f64 v[24:25], v[110:111], -v[116:117]
	;; [unrolled: 1-line block ×3, first 2 shown]
	v_fmac_f64_e32 v[42:43], s[2:3], v[20:21]
	v_fmac_f64_e32 v[54:55], s[16:17], v[22:23]
	v_add_f64 v[24:25], v[24:25], v[26:27]
	v_fmac_f64_e32 v[42:43], s[4:5], v[22:23]
	v_fmac_f64_e32 v[54:55], s[6:7], v[24:25]
	;; [unrolled: 1-line block ×3, first 2 shown]
	v_add_f64 v[24:25], v[110:111], v[162:163]
	v_fmac_f64_e32 v[10:11], -0.5, v[24:25]
	v_fmac_f64_e32 v[216:217], v[34:35], v[50:51]
	v_fma_f64 v[50:51], s[2:3], v[22:23], v[10:11]
	v_fmac_f64_e32 v[10:11], s[14:15], v[22:23]
	v_fmac_f64_e32 v[50:51], s[16:17], v[20:21]
	;; [unrolled: 1-line block ×3, first 2 shown]
	v_add_f64 v[20:21], v[152:153], v[100:101]
	v_add_f64 v[20:21], v[20:21], v[102:103]
	;; [unrolled: 1-line block ×3, first 2 shown]
	v_add_f64 v[24:25], v[116:117], -v[110:111]
	v_add_f64 v[26:27], v[156:157], -v[162:163]
	v_add_f64 v[44:45], v[20:21], v[106:107]
	v_add_f64 v[20:21], v[102:103], v[104:105]
	;; [unrolled: 1-line block ×3, first 2 shown]
	v_fma_f64 v[208:209], -0.5, v[20:21], v[152:153]
	v_add_f64 v[20:21], v[92:93], -v[98:99]
	v_fmac_f64_e32 v[50:51], s[6:7], v[24:25]
	v_fmac_f64_e32 v[10:11], s[6:7], v[24:25]
	v_fma_f64 v[36:37], s[2:3], v[20:21], v[208:209]
	v_add_f64 v[22:23], v[94:95], -v[96:97]
	v_add_f64 v[24:25], v[100:101], -v[102:103]
	;; [unrolled: 1-line block ×3, first 2 shown]
	v_fmac_f64_e32 v[208:209], s[14:15], v[20:21]
	v_fmac_f64_e32 v[36:37], s[4:5], v[22:23]
	v_add_f64 v[24:25], v[24:25], v[26:27]
	v_fmac_f64_e32 v[208:209], s[16:17], v[22:23]
	v_fmac_f64_e32 v[36:37], s[6:7], v[24:25]
	;; [unrolled: 1-line block ×3, first 2 shown]
	v_add_f64 v[24:25], v[100:101], v[106:107]
	v_fmac_f64_e32 v[152:153], -0.5, v[24:25]
	v_fma_f64 v[32:33], s[14:15], v[22:23], v[152:153]
	v_fmac_f64_e32 v[152:153], s[2:3], v[22:23]
	v_fmac_f64_e32 v[32:33], s[4:5], v[20:21]
	v_fmac_f64_e32 v[152:153], s[16:17], v[20:21]
	v_add_f64 v[20:21], v[154:155], v[92:93]
	v_add_f64 v[20:21], v[20:21], v[94:95]
	;; [unrolled: 1-line block ×3, first 2 shown]
	v_fmac_f64_e32 v[220:221], v[30:31], v[46:47]
	v_add_f64 v[24:25], v[102:103], -v[100:101]
	v_add_f64 v[26:27], v[104:105], -v[106:107]
	v_add_f64 v[46:47], v[20:21], v[98:99]
	v_add_f64 v[20:21], v[94:95], v[96:97]
	;; [unrolled: 1-line block ×3, first 2 shown]
	v_fma_f64 v[210:211], -0.5, v[20:21], v[154:155]
	v_add_f64 v[20:21], v[100:101], -v[106:107]
	v_fmac_f64_e32 v[32:33], s[6:7], v[24:25]
	v_fmac_f64_e32 v[152:153], s[6:7], v[24:25]
	v_fma_f64 v[38:39], s[14:15], v[20:21], v[210:211]
	v_add_f64 v[22:23], v[102:103], -v[104:105]
	v_add_f64 v[24:25], v[92:93], -v[94:95]
	;; [unrolled: 1-line block ×3, first 2 shown]
	v_fmac_f64_e32 v[210:211], s[2:3], v[20:21]
	v_fmac_f64_e32 v[38:39], s[16:17], v[22:23]
	v_add_f64 v[24:25], v[24:25], v[26:27]
	v_fmac_f64_e32 v[210:211], s[4:5], v[22:23]
	v_fmac_f64_e32 v[38:39], s[6:7], v[24:25]
	;; [unrolled: 1-line block ×3, first 2 shown]
	v_add_f64 v[24:25], v[92:93], v[98:99]
	v_fmac_f64_e32 v[154:155], -0.5, v[24:25]
	v_fma_f64 v[34:35], s[2:3], v[22:23], v[154:155]
	v_fmac_f64_e32 v[154:155], s[14:15], v[22:23]
	v_fmac_f64_e32 v[34:35], s[16:17], v[20:21]
	;; [unrolled: 1-line block ×3, first 2 shown]
	v_add_f64 v[20:21], v[4:5], v[200:201]
	v_add_f64 v[20:21], v[20:21], v[212:213]
	;; [unrolled: 1-line block ×3, first 2 shown]
	v_add_f64 v[24:25], v[94:95], -v[92:93]
	v_add_f64 v[26:27], v[96:97], -v[98:99]
	v_add_f64 v[92:93], v[20:21], v[222:223]
	v_add_f64 v[20:21], v[212:213], v[218:219]
	;; [unrolled: 1-line block ×3, first 2 shown]
	v_fma_f64 v[20:21], -0.5, v[20:21], v[4:5]
	v_add_f64 v[22:23], v[196:197], -v[214:215]
	v_fmac_f64_e32 v[34:35], s[6:7], v[24:25]
	v_fmac_f64_e32 v[154:155], s[6:7], v[24:25]
	v_fma_f64 v[24:25], s[2:3], v[22:23], v[20:21]
	v_add_f64 v[26:27], v[198:199], -v[202:203]
	v_add_f64 v[28:29], v[200:201], -v[212:213]
	v_add_f64 v[30:31], v[222:223], -v[218:219]
	v_fmac_f64_e32 v[20:21], s[14:15], v[22:23]
	v_fmac_f64_e32 v[24:25], s[4:5], v[26:27]
	v_add_f64 v[28:29], v[28:29], v[30:31]
	v_fmac_f64_e32 v[20:21], s[16:17], v[26:27]
	v_fmac_f64_e32 v[24:25], s[6:7], v[28:29]
	;; [unrolled: 1-line block ×3, first 2 shown]
	v_add_f64 v[28:29], v[200:201], v[222:223]
	v_fmac_f64_e32 v[4:5], -0.5, v[28:29]
	v_fma_f64 v[28:29], s[14:15], v[26:27], v[4:5]
	v_fmac_f64_e32 v[4:5], s[2:3], v[26:27]
	v_fmac_f64_e32 v[28:29], s[4:5], v[22:23]
	;; [unrolled: 1-line block ×3, first 2 shown]
	v_add_f64 v[22:23], v[6:7], v[196:197]
	v_add_f64 v[22:23], v[22:23], v[198:199]
	v_add_f64 v[30:31], v[212:213], -v[200:201]
	v_add_f64 v[94:95], v[218:219], -v[222:223]
	v_add_f64 v[22:23], v[22:23], v[202:203]
	v_add_f64 v[30:31], v[30:31], v[94:95]
	;; [unrolled: 1-line block ×4, first 2 shown]
	v_fma_f64 v[22:23], -0.5, v[22:23], v[6:7]
	v_add_f64 v[96:97], v[200:201], -v[222:223]
	v_fmac_f64_e32 v[28:29], s[6:7], v[30:31]
	v_fmac_f64_e32 v[4:5], s[6:7], v[30:31]
	v_fma_f64 v[26:27], s[14:15], v[96:97], v[22:23]
	v_add_f64 v[98:99], v[212:213], -v[218:219]
	v_add_f64 v[30:31], v[196:197], -v[198:199]
	;; [unrolled: 1-line block ×3, first 2 shown]
	v_fmac_f64_e32 v[22:23], s[2:3], v[96:97]
	v_fmac_f64_e32 v[26:27], s[16:17], v[98:99]
	v_add_f64 v[30:31], v[30:31], v[100:101]
	v_fmac_f64_e32 v[22:23], s[4:5], v[98:99]
	v_fmac_f64_e32 v[26:27], s[6:7], v[30:31]
	;; [unrolled: 1-line block ×3, first 2 shown]
	v_add_f64 v[30:31], v[196:197], v[214:215]
	v_fmac_f64_e32 v[6:7], -0.5, v[30:31]
	v_fma_f64 v[30:31], s[2:3], v[98:99], v[6:7]
	v_fmac_f64_e32 v[6:7], s[14:15], v[98:99]
	v_fmac_f64_e32 v[30:31], s[16:17], v[96:97]
	;; [unrolled: 1-line block ×3, first 2 shown]
	v_add_f64 v[96:97], v[0:1], v[224:225]
	v_add_f64 v[96:97], v[96:97], v[228:229]
	;; [unrolled: 1-line block ×3, first 2 shown]
	v_add_f64 v[100:101], v[198:199], -v[196:197]
	v_add_f64 v[102:103], v[202:203], -v[214:215]
	v_add_f64 v[196:197], v[96:97], v[234:235]
	v_add_f64 v[96:97], v[228:229], v[232:233]
	;; [unrolled: 1-line block ×3, first 2 shown]
	v_fma_f64 v[188:189], -0.5, v[96:97], v[0:1]
	v_add_f64 v[96:97], v[216:217], -v[230:231]
	v_fmac_f64_e32 v[30:31], s[6:7], v[100:101]
	v_fmac_f64_e32 v[6:7], s[6:7], v[100:101]
	v_fma_f64 v[192:193], s[2:3], v[96:97], v[188:189]
	v_add_f64 v[98:99], v[220:221], -v[226:227]
	v_add_f64 v[100:101], v[224:225], -v[228:229]
	v_add_f64 v[102:103], v[234:235], -v[232:233]
	v_fmac_f64_e32 v[188:189], s[14:15], v[96:97]
	v_fmac_f64_e32 v[192:193], s[4:5], v[98:99]
	v_add_f64 v[100:101], v[100:101], v[102:103]
	v_fmac_f64_e32 v[188:189], s[16:17], v[98:99]
	v_fmac_f64_e32 v[192:193], s[6:7], v[100:101]
	;; [unrolled: 1-line block ×3, first 2 shown]
	v_add_f64 v[100:101], v[224:225], v[234:235]
	v_fmac_f64_e32 v[0:1], -0.5, v[100:101]
	v_fma_f64 v[200:201], s[14:15], v[98:99], v[0:1]
	v_fmac_f64_e32 v[0:1], s[2:3], v[98:99]
	v_fmac_f64_e32 v[200:201], s[4:5], v[96:97]
	;; [unrolled: 1-line block ×3, first 2 shown]
	v_add_f64 v[96:97], v[2:3], v[216:217]
	v_add_f64 v[96:97], v[96:97], v[220:221]
	;; [unrolled: 1-line block ×3, first 2 shown]
	v_add_f64 v[100:101], v[228:229], -v[224:225]
	v_add_f64 v[102:103], v[232:233], -v[234:235]
	v_add_f64 v[198:199], v[96:97], v[230:231]
	v_add_f64 v[96:97], v[220:221], v[226:227]
	;; [unrolled: 1-line block ×3, first 2 shown]
	v_fma_f64 v[190:191], -0.5, v[96:97], v[2:3]
	v_add_f64 v[96:97], v[224:225], -v[234:235]
	v_fmac_f64_e32 v[200:201], s[6:7], v[100:101]
	v_fmac_f64_e32 v[0:1], s[6:7], v[100:101]
	v_fma_f64 v[194:195], s[14:15], v[96:97], v[190:191]
	v_add_f64 v[98:99], v[228:229], -v[232:233]
	v_add_f64 v[100:101], v[216:217], -v[220:221]
	;; [unrolled: 1-line block ×3, first 2 shown]
	v_fmac_f64_e32 v[190:191], s[2:3], v[96:97]
	v_fmac_f64_e32 v[194:195], s[16:17], v[98:99]
	v_add_f64 v[100:101], v[100:101], v[102:103]
	v_fmac_f64_e32 v[190:191], s[4:5], v[98:99]
	v_fmac_f64_e32 v[194:195], s[6:7], v[100:101]
	;; [unrolled: 1-line block ×3, first 2 shown]
	v_add_f64 v[100:101], v[216:217], v[230:231]
	v_fmac_f64_e32 v[2:3], -0.5, v[100:101]
	ds_write_b128 v237, v[88:91]
	ds_write_b128 v237, v[80:83] offset:160
	ds_write_b128 v237, v[72:75] offset:320
	;; [unrolled: 1-line block ×19, first 2 shown]
	v_and_b32_e32 v8, 0xff, v124
	v_fma_f64 v[202:203], s[2:3], v[98:99], v[2:3]
	v_add_f64 v[100:101], v[220:221], -v[216:217]
	v_add_f64 v[102:103], v[226:227], -v[230:231]
	v_fmac_f64_e32 v[2:3], s[14:15], v[98:99]
	v_lshl_add_u32 v245, v8, 4, v246
	v_add_f64 v[100:101], v[100:101], v[102:103]
	v_fmac_f64_e32 v[2:3], s[4:5], v[96:97]
	ds_write_b128 v245, v[92:95] offset:1600
	ds_write_b128 v245, v[24:27] offset:1760
	;; [unrolled: 1-line block ×5, first 2 shown]
	v_and_b32_e32 v4, 0xff, v125
	v_fmac_f64_e32 v[202:203], s[16:17], v[96:97]
	v_fmac_f64_e32 v[2:3], s[6:7], v[100:101]
	v_lshl_add_u32 v246, v4, 4, v246
	v_fmac_f64_e32 v[202:203], s[6:7], v[100:101]
	ds_write_b128 v246, v[196:199] offset:1600
	ds_write_b128 v246, v[192:195] offset:1760
	ds_write_b128 v246, v[200:203] offset:1920
	ds_write_b128 v246, v[0:3] offset:2080
	ds_write_b128 v246, v[188:191] offset:2240
	s_waitcnt lgkmcnt(0)
	; wave barrier
	s_waitcnt lgkmcnt(0)
	ds_read_b128 v[36:39], v237
	ds_read_b128 v[116:119], v237 offset:800
	ds_read_b128 v[112:115], v237 offset:1600
	ds_read_b128 v[32:35], v237 offset:80
	ds_read_b128 v[108:111], v237 offset:880
	ds_read_b128 v[104:107], v237 offset:1680
	ds_read_b128 v[28:31], v237 offset:160
	ds_read_b128 v[100:103], v237 offset:960
	ds_read_b128 v[96:99], v237 offset:1760
	ds_read_b128 v[24:27], v237 offset:240
	ds_read_b128 v[92:95], v237 offset:1040
	ds_read_b128 v[88:91], v237 offset:1840
	ds_read_b128 v[20:23], v237 offset:320
	ds_read_b128 v[84:87], v237 offset:1120
	ds_read_b128 v[80:83], v237 offset:1920
	ds_read_b128 v[16:19], v237 offset:400
	ds_read_b128 v[76:79], v237 offset:1200
	ds_read_b128 v[72:75], v237 offset:2000
	ds_read_b128 v[12:15], v237 offset:480
	ds_read_b128 v[68:71], v237 offset:1280
	ds_read_b128 v[64:67], v237 offset:2080
	ds_read_b128 v[8:11], v237 offset:560
	ds_read_b128 v[60:63], v237 offset:1360
	ds_read_b128 v[56:59], v237 offset:2160
	ds_read_b128 v[4:7], v237 offset:640
	ds_read_b128 v[52:55], v237 offset:1440
	ds_read_b128 v[48:51], v237 offset:2240
	ds_read_b128 v[0:3], v237 offset:720
	ds_read_b128 v[44:47], v237 offset:1520
	ds_read_b128 v[40:43], v237 offset:2320
	global_load_dwordx4 v[124:127], v252, s[10:11] offset:656
	global_load_dwordx4 v[130:133], v252, s[10:11] offset:640
	s_waitcnt vmcnt(1)
	v_accvgpr_write_b32 a161, v127
	s_waitcnt vmcnt(0) lgkmcnt(14)
	v_mul_f64 v[120:121], v[118:119], v[132:133]
	v_fma_f64 v[120:121], v[116:117], v[130:131], -v[120:121]
	v_mul_f64 v[122:123], v[116:117], v[132:133]
	v_mul_f64 v[116:117], v[114:115], v[126:127]
	v_fma_f64 v[152:153], v[112:113], v[124:125], -v[116:117]
	v_mul_f64 v[112:113], v[112:113], v[126:127]
	v_fmac_f64_e32 v[112:113], v[114:115], v[124:125]
	v_lshlrev_b32_e32 v114, 5, v250
	v_fmac_f64_e32 v[122:123], v[118:119], v[130:131]
	v_accvgpr_write_b32 a160, v126
	v_accvgpr_write_b32 a159, v125
	;; [unrolled: 1-line block ×3, first 2 shown]
	global_load_dwordx4 v[116:119], v114, s[10:11] offset:656
	global_load_dwordx4 v[124:127], v114, s[10:11] offset:640
	v_accvgpr_write_b32 a165, v133
	v_accvgpr_write_b32 a164, v132
	v_accvgpr_write_b32 a163, v131
	v_accvgpr_write_b32 a162, v130
	s_waitcnt vmcnt(1)
	v_mul_f64 v[158:159], v[104:105], v[118:119]
	s_waitcnt vmcnt(0)
	v_mul_f64 v[114:115], v[110:111], v[126:127]
	v_fma_f64 v[154:155], v[108:109], v[124:125], -v[114:115]
	v_mul_f64 v[156:157], v[108:109], v[126:127]
	v_mul_f64 v[108:109], v[106:107], v[118:119]
	v_fmac_f64_e32 v[156:157], v[110:111], v[124:125]
	v_fma_f64 v[110:111], v[104:105], v[116:117], -v[108:109]
	v_lshlrev_b32_e32 v104, 5, v248
	v_fmac_f64_e32 v[158:159], v[106:107], v[116:117]
	global_load_dwordx4 v[106:109], v104, s[10:11] offset:656
	global_load_dwordx4 v[196:199], v104, s[10:11] offset:640
	v_accvgpr_write_b32 a173, v127
	v_accvgpr_write_b32 a172, v126
	;; [unrolled: 1-line block ×8, first 2 shown]
	s_waitcnt vmcnt(1)
	v_mul_f64 v[166:167], v[96:97], v[108:109]
	s_waitcnt vmcnt(0)
	v_mul_f64 v[104:105], v[102:103], v[198:199]
	v_fma_f64 v[160:161], v[100:101], v[196:197], -v[104:105]
	v_mul_f64 v[162:163], v[100:101], v[198:199]
	v_mul_f64 v[100:101], v[98:99], v[108:109]
	v_fma_f64 v[164:165], v[96:97], v[106:107], -v[100:101]
	v_add_u32_e32 v96, 0x1e0, v252
	v_fmac_f64_e32 v[162:163], v[102:103], v[196:197]
	v_fmac_f64_e32 v[166:167], v[98:99], v[106:107]
	global_load_dwordx4 v[98:101], v96, s[10:11] offset:656
	global_load_dwordx4 v[102:105], v96, s[10:11] offset:640
	v_accvgpr_write_b32 a177, v109
	v_accvgpr_write_b32 a176, v108
	;; [unrolled: 1-line block ×4, first 2 shown]
	s_waitcnt vmcnt(1)
	v_accvgpr_write_b32 a185, v101
	s_waitcnt vmcnt(0)
	v_mul_f64 v[96:97], v[94:95], v[104:105]
	v_fma_f64 v[168:169], v[92:93], v[102:103], -v[96:97]
	v_mul_f64 v[170:171], v[92:93], v[104:105]
	v_mul_f64 v[92:93], v[90:91], v[100:101]
	v_fmac_f64_e32 v[170:171], v[94:95], v[102:103]
	v_fma_f64 v[92:93], v[88:89], v[98:99], -v[92:93]
	v_mul_f64 v[94:95], v[88:89], v[100:101]
	v_lshlrev_b32_e32 v88, 5, v129
	global_load_dwordx4 v[216:219], v88, s[10:11] offset:656
	global_load_dwordx4 v[220:223], v88, s[10:11] offset:640
	v_accvgpr_write_b32 a181, v105
	v_accvgpr_write_b32 a180, v104
	;; [unrolled: 1-line block ×7, first 2 shown]
	v_fmac_f64_e32 v[94:95], v[90:91], v[98:99]
	s_waitcnt vmcnt(1)
	v_mul_f64 v[124:125], v[80:81], v[218:219]
	s_waitcnt vmcnt(0)
	v_mul_f64 v[88:89], v[86:87], v[222:223]
	v_fma_f64 v[88:89], v[84:85], v[220:221], -v[88:89]
	v_mul_f64 v[84:85], v[84:85], v[222:223]
	v_fmac_f64_e32 v[84:85], v[86:87], v[220:221]
	v_mul_f64 v[86:87], v[82:83], v[218:219]
	v_fma_f64 v[86:87], v[80:81], v[216:217], -v[86:87]
	v_lshlrev_b32_e32 v80, 5, v249
	global_load_dwordx4 v[224:227], v80, s[10:11] offset:656
	global_load_dwordx4 v[228:231], v80, s[10:11] offset:640
	v_fmac_f64_e32 v[124:125], v[82:83], v[216:217]
	s_waitcnt vmcnt(0) lgkmcnt(13)
	v_mul_f64 v[80:81], v[78:79], v[230:231]
	v_fma_f64 v[126:127], v[76:77], v[228:229], -v[80:81]
	v_mul_f64 v[76:77], v[76:77], v[230:231]
	v_fmac_f64_e32 v[76:77], v[78:79], v[228:229]
	s_waitcnt lgkmcnt(12)
	v_mul_f64 v[78:79], v[74:75], v[226:227]
	v_fma_f64 v[78:79], v[72:73], v[224:225], -v[78:79]
	v_mul_f64 v[72:73], v[72:73], v[226:227]
	v_fmac_f64_e32 v[72:73], v[74:75], v[224:225]
	v_add_u32_e32 v74, 0x3c0, v252
	global_load_dwordx4 v[232:235], v74, s[10:11] offset:656
	global_load_dwordx4 v[192:195], v74, s[10:11] offset:640
	v_mov_b32_e32 v80, v252
	s_waitcnt vmcnt(0) lgkmcnt(10)
	v_mul_f64 v[74:75], v[70:71], v[194:195]
	v_fma_f64 v[74:75], v[68:69], v[192:193], -v[74:75]
	v_mul_f64 v[68:69], v[68:69], v[194:195]
	v_fmac_f64_e32 v[68:69], v[70:71], v[192:193]
	s_waitcnt lgkmcnt(9)
	v_mul_f64 v[70:71], v[66:67], v[234:235]
	v_fma_f64 v[70:71], v[64:65], v[232:233], -v[70:71]
	v_mul_f64 v[64:65], v[64:65], v[234:235]
	v_fmac_f64_e32 v[64:65], v[66:67], v[232:233]
	v_add_u32_e32 v66, 0x460, v252
	global_load_dwordx4 v[188:191], v66, s[10:11] offset:656
	global_load_dwordx4 v[212:215], v66, s[10:11] offset:640
	s_waitcnt vmcnt(0) lgkmcnt(7)
	v_mul_f64 v[66:67], v[62:63], v[214:215]
	v_fma_f64 v[66:67], v[60:61], v[212:213], -v[66:67]
	v_mul_f64 v[60:61], v[60:61], v[214:215]
	v_fmac_f64_e32 v[60:61], v[62:63], v[212:213]
	s_waitcnt lgkmcnt(6)
	v_mul_f64 v[62:63], v[58:59], v[190:191]
	v_fma_f64 v[62:63], v[56:57], v[188:189], -v[62:63]
	v_mul_f64 v[56:57], v[56:57], v[190:191]
	v_fmac_f64_e32 v[56:57], v[58:59], v[188:189]
	v_lshlrev_b32_e32 v58, 5, v251
	global_load_dwordx4 v[248:251], v58, s[10:11] offset:656
	global_load_dwordx4 v[252:255], v58, s[10:11] offset:640
	s_waitcnt vmcnt(0) lgkmcnt(4)
	v_mul_f64 v[58:59], v[54:55], v[254:255]
	v_fma_f64 v[58:59], v[52:53], v[252:253], -v[58:59]
	v_mul_f64 v[52:53], v[52:53], v[254:255]
	v_fmac_f64_e32 v[52:53], v[54:55], v[252:253]
	s_waitcnt lgkmcnt(3)
	v_mul_f64 v[54:55], v[50:51], v[250:251]
	v_fma_f64 v[54:55], v[48:49], v[248:249], -v[54:55]
	v_mul_f64 v[48:49], v[48:49], v[250:251]
	v_fmac_f64_e32 v[48:49], v[50:51], v[248:249]
	v_add_u32_e32 v50, 0x5a0, v80
	global_load_dwordx4 v[200:203], v50, s[10:11] offset:656
	global_load_dwordx4 v[180:183], v50, s[10:11] offset:640
	s_mov_b32 s10, 0xe8584caa
	s_mov_b32 s11, 0x3febb67a
	s_mov_b32 s26, s10
	s_waitcnt vmcnt(0) lgkmcnt(1)
	v_mul_f64 v[50:51], v[46:47], v[182:183]
	v_fma_f64 v[50:51], v[44:45], v[180:181], -v[50:51]
	v_mul_f64 v[44:45], v[44:45], v[182:183]
	v_fmac_f64_e32 v[44:45], v[46:47], v[180:181]
	s_waitcnt lgkmcnt(0)
	v_mul_f64 v[46:47], v[42:43], v[202:203]
	v_fma_f64 v[46:47], v[40:41], v[200:201], -v[46:47]
	v_mul_f64 v[40:41], v[40:41], v[202:203]
	v_fmac_f64_e32 v[40:41], v[42:43], v[200:201]
	v_add_f64 v[42:43], v[36:37], v[120:121]
	v_add_f64 v[116:117], v[42:43], v[152:153]
	v_add_f64 v[42:43], v[120:121], v[152:153]
	v_fmac_f64_e32 v[36:37], -0.5, v[42:43]
	v_add_f64 v[42:43], v[122:123], -v[112:113]
	v_fma_f64 v[104:105], s[10:11], v[42:43], v[36:37]
	v_fmac_f64_e32 v[36:37], s[26:27], v[42:43]
	v_add_f64 v[42:43], v[38:39], v[122:123]
	v_add_f64 v[118:119], v[42:43], v[112:113]
	v_add_f64 v[42:43], v[122:123], v[112:113]
	v_fmac_f64_e32 v[38:39], -0.5, v[42:43]
	v_add_f64 v[42:43], v[120:121], -v[152:153]
	v_fma_f64 v[106:107], s[26:27], v[42:43], v[38:39]
	;; [unrolled: 7-line block ×20, first 2 shown]
	v_fmac_f64_e32 v[2:3], s[10:11], v[40:41]
	ds_write_b128 v237, v[116:119]
	ds_write_b128 v237, v[104:107] offset:800
	ds_write_b128 v237, v[36:39] offset:1600
	;; [unrolled: 1-line block ×29, first 2 shown]
	s_waitcnt lgkmcnt(0)
	; wave barrier
	s_waitcnt lgkmcnt(0)
	global_load_dwordx4 v[4:7], v128, s[8:9] offset:2400
	ds_read_b128 v[0:3], v237
	s_waitcnt vmcnt(0) lgkmcnt(0)
	v_mul_f64 v[8:9], v[2:3], v[6:7]
	v_mul_f64 v[10:11], v[0:1], v[6:7]
	v_fma_f64 v[8:9], v[0:1], v[4:5], -v[8:9]
	v_fmac_f64_e32 v[10:11], v[2:3], v[4:5]
	global_load_dwordx4 v[4:7], v128, s[18:19] offset:240
	ds_read_b128 v[0:3], v237 offset:240
	ds_write_b128 v237, v[8:11]
	s_waitcnt vmcnt(0) lgkmcnt(1)
	v_mul_f64 v[8:9], v[2:3], v[6:7]
	v_mul_f64 v[10:11], v[0:1], v[6:7]
	v_fma_f64 v[8:9], v[0:1], v[4:5], -v[8:9]
	v_fmac_f64_e32 v[10:11], v[2:3], v[4:5]
	global_load_dwordx4 v[4:7], v128, s[18:19] offset:480
	ds_read_b128 v[0:3], v237 offset:480
	ds_write_b128 v237, v[8:11] offset:240
	s_waitcnt vmcnt(0) lgkmcnt(1)
	v_mul_f64 v[8:9], v[2:3], v[6:7]
	v_mul_f64 v[10:11], v[0:1], v[6:7]
	v_fma_f64 v[8:9], v[0:1], v[4:5], -v[8:9]
	v_fmac_f64_e32 v[10:11], v[2:3], v[4:5]
	global_load_dwordx4 v[4:7], v128, s[18:19] offset:720
	ds_read_b128 v[0:3], v237 offset:720
	ds_write_b128 v237, v[8:11] offset:480
	;; [unrolled: 8-line block ×28, first 2 shown]
	s_waitcnt vmcnt(0) lgkmcnt(1)
	v_mul_f64 v[8:9], v[2:3], v[6:7]
	v_mul_f64 v[10:11], v[0:1], v[6:7]
	v_fma_f64 v[8:9], v[0:1], v[4:5], -v[8:9]
	v_fmac_f64_e32 v[10:11], v[2:3], v[4:5]
	ds_write_b128 v237, v[8:11] offset:2320
	s_waitcnt lgkmcnt(0)
	; wave barrier
	s_waitcnt lgkmcnt(0)
	ds_read_b128 v[64:67], v237
	ds_read_b128 v[84:87], v237 offset:240
	ds_read_b128 v[152:155], v237 offset:480
	;; [unrolled: 1-line block ×29, first 2 shown]
	s_waitcnt lgkmcnt(14)
	v_add_f64 v[16:17], v[64:65], v[152:153]
	v_add_f64 v[16:17], v[16:17], v[156:157]
	;; [unrolled: 1-line block ×5, first 2 shown]
	v_fma_f64 v[16:17], -0.5, v[16:17], v[64:65]
	v_add_f64 v[32:33], v[154:155], -v[166:167]
	v_fma_f64 v[38:39], s[14:15], v[32:33], v[16:17]
	v_add_f64 v[40:41], v[158:159], -v[162:163]
	v_add_f64 v[30:31], v[152:153], -v[156:157]
	;; [unrolled: 1-line block ×3, first 2 shown]
	v_fmac_f64_e32 v[16:17], s[2:3], v[32:33]
	v_fmac_f64_e32 v[38:39], s[16:17], v[40:41]
	v_add_f64 v[30:31], v[30:31], v[62:63]
	v_fmac_f64_e32 v[16:17], s[4:5], v[40:41]
	v_fmac_f64_e32 v[38:39], s[6:7], v[30:31]
	;; [unrolled: 1-line block ×3, first 2 shown]
	v_add_f64 v[30:31], v[152:153], v[164:165]
	v_fmac_f64_e32 v[64:65], -0.5, v[30:31]
	v_fma_f64 v[30:31], s[2:3], v[40:41], v[64:65]
	v_fmac_f64_e32 v[64:65], s[14:15], v[40:41]
	v_fmac_f64_e32 v[30:31], s[16:17], v[32:33]
	;; [unrolled: 1-line block ×3, first 2 shown]
	v_add_f64 v[32:33], v[66:67], v[154:155]
	v_add_f64 v[32:33], v[32:33], v[158:159]
	v_add_f64 v[62:63], v[156:157], -v[152:153]
	v_add_f64 v[112:113], v[160:161], -v[164:165]
	v_add_f64 v[32:33], v[32:33], v[162:163]
	v_add_f64 v[62:63], v[62:63], v[112:113]
	;; [unrolled: 1-line block ×4, first 2 shown]
	v_fmac_f64_e32 v[30:31], s[6:7], v[62:63]
	v_fmac_f64_e32 v[64:65], s[6:7], v[62:63]
	v_fma_f64 v[62:63], -0.5, v[32:33], v[66:67]
	v_add_f64 v[32:33], v[152:153], -v[164:165]
	v_fma_f64 v[40:41], s[2:3], v[32:33], v[62:63]
	v_add_f64 v[112:113], v[156:157], -v[160:161]
	v_add_f64 v[114:115], v[154:155], -v[158:159]
	;; [unrolled: 1-line block ×3, first 2 shown]
	v_fmac_f64_e32 v[62:63], s[14:15], v[32:33]
	v_fmac_f64_e32 v[40:41], s[4:5], v[112:113]
	v_add_f64 v[114:115], v[114:115], v[122:123]
	v_fmac_f64_e32 v[62:63], s[16:17], v[112:113]
	v_fmac_f64_e32 v[40:41], s[6:7], v[114:115]
	;; [unrolled: 1-line block ×3, first 2 shown]
	v_add_f64 v[114:115], v[154:155], v[166:167]
	v_fmac_f64_e32 v[66:67], -0.5, v[114:115]
	v_fma_f64 v[114:115], s[14:15], v[112:113], v[66:67]
	v_fmac_f64_e32 v[66:67], s[2:3], v[112:113]
	v_fmac_f64_e32 v[114:115], s[4:5], v[32:33]
	;; [unrolled: 1-line block ×3, first 2 shown]
	v_add_f64 v[32:33], v[84:85], v[88:89]
	v_add_f64 v[32:33], v[32:33], v[92:93]
	v_add_f64 v[122:123], v[158:159], -v[154:155]
	v_add_f64 v[126:127], v[162:163], -v[166:167]
	v_add_f64 v[32:33], v[32:33], v[96:97]
	v_add_f64 v[122:123], v[122:123], v[126:127]
	;; [unrolled: 1-line block ×4, first 2 shown]
	v_fmac_f64_e32 v[114:115], s[6:7], v[122:123]
	v_fmac_f64_e32 v[66:67], s[6:7], v[122:123]
	v_fma_f64 v[122:123], -0.5, v[32:33], v[84:85]
	v_add_f64 v[32:33], v[90:91], -v[102:103]
	v_fma_f64 v[126:127], s[14:15], v[32:33], v[122:123]
	v_add_f64 v[152:153], v[94:95], -v[98:99]
	v_add_f64 v[154:155], v[88:89], -v[92:93]
	;; [unrolled: 1-line block ×3, first 2 shown]
	v_fmac_f64_e32 v[122:123], s[2:3], v[32:33]
	v_fmac_f64_e32 v[126:127], s[16:17], v[152:153]
	v_add_f64 v[154:155], v[154:155], v[156:157]
	v_fmac_f64_e32 v[122:123], s[4:5], v[152:153]
	v_fmac_f64_e32 v[126:127], s[6:7], v[154:155]
	;; [unrolled: 1-line block ×3, first 2 shown]
	v_add_f64 v[154:155], v[88:89], v[100:101]
	v_fmac_f64_e32 v[84:85], -0.5, v[154:155]
	v_fma_f64 v[154:155], s[2:3], v[152:153], v[84:85]
	v_add_f64 v[156:157], v[92:93], -v[88:89]
	v_add_f64 v[158:159], v[96:97], -v[100:101]
	v_fmac_f64_e32 v[84:85], s[14:15], v[152:153]
	v_add_f64 v[152:153], v[94:95], v[98:99]
	v_add_f64 v[156:157], v[156:157], v[158:159]
	v_fma_f64 v[158:159], -0.5, v[152:153], v[86:87]
	v_add_f64 v[88:89], v[88:89], -v[100:101]
	v_fma_f64 v[100:101], s[2:3], v[88:89], v[158:159]
	v_add_f64 v[92:93], v[92:93], -v[96:97]
	v_add_f64 v[96:97], v[90:91], -v[94:95]
	;; [unrolled: 1-line block ×3, first 2 shown]
	v_fmac_f64_e32 v[158:159], s[14:15], v[88:89]
	v_fmac_f64_e32 v[100:101], s[4:5], v[92:93]
	v_add_f64 v[96:97], v[96:97], v[152:153]
	v_fmac_f64_e32 v[158:159], s[16:17], v[92:93]
	v_fmac_f64_e32 v[100:101], s[6:7], v[96:97]
	;; [unrolled: 1-line block ×3, first 2 shown]
	v_add_f64 v[96:97], v[90:91], v[102:103]
	v_fmac_f64_e32 v[154:155], s[16:17], v[32:33]
	v_fmac_f64_e32 v[84:85], s[4:5], v[32:33]
	v_add_f64 v[32:33], v[86:87], v[90:91]
	v_fmac_f64_e32 v[86:87], -0.5, v[96:97]
	v_add_f64 v[32:33], v[32:33], v[94:95]
	v_fma_f64 v[96:97], s[14:15], v[92:93], v[86:87]
	v_add_f64 v[90:91], v[94:95], -v[90:91]
	v_add_f64 v[94:95], v[98:99], -v[102:103]
	v_fmac_f64_e32 v[86:87], s[2:3], v[92:93]
	v_add_f64 v[90:91], v[90:91], v[94:95]
	v_fmac_f64_e32 v[86:87], s[16:17], v[88:89]
	v_fmac_f64_e32 v[86:87], s[6:7], v[90:91]
	;; [unrolled: 1-line block ×4, first 2 shown]
	v_mul_f64 v[88:89], v[100:101], s[16:17]
	v_mul_f64 v[94:95], v[86:87], s[14:15]
	;; [unrolled: 1-line block ×3, first 2 shown]
	v_fmac_f64_e32 v[88:89], s[24:25], v[126:127]
	v_fmac_f64_e32 v[94:95], s[22:23], v[84:85]
	;; [unrolled: 1-line block ×4, first 2 shown]
	v_add_f64 v[168:169], v[38:39], v[88:89]
	v_add_f64 v[160:161], v[64:65], v[94:95]
	;; [unrolled: 1-line block ×3, first 2 shown]
	v_add_f64 v[156:157], v[38:39], -v[88:89]
	v_add_f64 v[88:89], v[64:65], -v[94:95]
	;; [unrolled: 1-line block ×3, first 2 shown]
	v_add_f64 v[0:1], v[6:7], v[68:69]
	v_add_f64 v[32:33], v[32:33], v[98:99]
	v_mul_f64 v[98:99], v[158:159], s[16:17]
	v_add_f64 v[0:1], v[0:1], v[72:73]
	v_fmac_f64_e32 v[96:97], s[6:7], v[90:91]
	v_fmac_f64_e32 v[98:99], s[20:21], v[122:123]
	s_waitcnt lgkmcnt(13)
	v_add_f64 v[0:1], v[0:1], v[76:77]
	v_add_f64 v[32:33], v[32:33], v[102:103]
	v_mul_f64 v[90:91], v[96:97], s[14:15]
	v_add_f64 v[208:209], v[16:17], v[98:99]
	v_mul_f64 v[102:103], v[126:127], s[4:5]
	v_mul_f64 v[126:127], v[96:97], s[6:7]
	v_add_f64 v[92:93], v[16:17], -v[98:99]
	s_waitcnt lgkmcnt(11)
	v_add_f64 v[16:17], v[0:1], v[18:19]
	v_add_f64 v[0:1], v[72:73], v[76:77]
	v_fmac_f64_e32 v[90:91], s[6:7], v[154:155]
	v_add_f64 v[166:167], v[120:121], v[32:33]
	v_fmac_f64_e32 v[126:127], s[2:3], v[154:155]
	v_add_f64 v[154:155], v[120:121], -v[32:33]
	v_fma_f64 v[32:33], -0.5, v[0:1], v[6:7]
	v_add_f64 v[0:1], v[70:71], -v[20:21]
	v_add_f64 v[172:173], v[30:31], v[90:91]
	v_fmac_f64_e32 v[102:103], s[24:25], v[100:101]
	v_add_f64 v[100:101], v[30:31], -v[90:91]
	v_fma_f64 v[62:63], s[14:15], v[0:1], v[32:33]
	v_add_f64 v[14:15], v[74:75], -v[78:79]
	v_add_f64 v[30:31], v[68:69], -v[72:73]
	;; [unrolled: 1-line block ×3, first 2 shown]
	v_fmac_f64_e32 v[32:33], s[2:3], v[0:1]
	v_fmac_f64_e32 v[62:63], s[16:17], v[14:15]
	v_add_f64 v[30:31], v[30:31], v[38:39]
	v_fmac_f64_e32 v[32:33], s[4:5], v[14:15]
	v_fmac_f64_e32 v[62:63], s[6:7], v[30:31]
	;; [unrolled: 1-line block ×3, first 2 shown]
	v_add_f64 v[30:31], v[68:69], v[18:19]
	v_fmac_f64_e32 v[6:7], -0.5, v[30:31]
	v_add_f64 v[170:171], v[40:41], v[102:103]
	v_add_f64 v[174:175], v[114:115], v[126:127]
	v_add_f64 v[158:159], v[40:41], -v[102:103]
	v_add_f64 v[102:103], v[114:115], -v[126:127]
	v_fma_f64 v[114:115], s[2:3], v[14:15], v[6:7]
	v_fmac_f64_e32 v[6:7], s[14:15], v[14:15]
	v_fmac_f64_e32 v[114:115], s[16:17], v[0:1]
	;; [unrolled: 1-line block ×3, first 2 shown]
	v_add_f64 v[0:1], v[8:9], v[70:71]
	v_add_f64 v[0:1], v[0:1], v[74:75]
	;; [unrolled: 1-line block ×3, first 2 shown]
	v_add_f64 v[30:31], v[72:73], -v[68:69]
	v_add_f64 v[38:39], v[76:77], -v[18:19]
	v_add_f64 v[40:41], v[0:1], v[20:21]
	v_add_f64 v[0:1], v[74:75], v[78:79]
	;; [unrolled: 1-line block ×3, first 2 shown]
	v_fma_f64 v[38:39], -0.5, v[0:1], v[8:9]
	v_add_f64 v[0:1], v[68:69], -v[18:19]
	v_add_f64 v[164:165], v[124:125], v[112:113]
	v_add_f64 v[152:153], v[124:125], -v[112:113]
	v_fmac_f64_e32 v[114:115], s[6:7], v[30:31]
	v_fmac_f64_e32 v[6:7], s[6:7], v[30:31]
	v_fma_f64 v[112:113], s[2:3], v[0:1], v[38:39]
	v_add_f64 v[14:15], v[72:73], -v[76:77]
	v_add_f64 v[18:19], v[70:71], -v[74:75]
	;; [unrolled: 1-line block ×3, first 2 shown]
	v_fmac_f64_e32 v[38:39], s[14:15], v[0:1]
	v_fmac_f64_e32 v[112:113], s[4:5], v[14:15]
	v_add_f64 v[18:19], v[18:19], v[30:31]
	v_fmac_f64_e32 v[38:39], s[16:17], v[14:15]
	v_fmac_f64_e32 v[112:113], s[6:7], v[18:19]
	;; [unrolled: 1-line block ×3, first 2 shown]
	v_add_f64 v[18:19], v[70:71], v[20:21]
	v_fmac_f64_e32 v[8:9], -0.5, v[18:19]
	v_fma_f64 v[120:121], s[14:15], v[14:15], v[8:9]
	v_fmac_f64_e32 v[8:9], s[2:3], v[14:15]
	v_fmac_f64_e32 v[120:121], s[4:5], v[0:1]
	;; [unrolled: 1-line block ×3, first 2 shown]
	v_add_f64 v[0:1], v[2:3], v[42:43]
	v_add_f64 v[18:19], v[74:75], -v[70:71]
	v_add_f64 v[20:21], v[78:79], -v[20:21]
	v_add_f64 v[0:1], v[0:1], v[116:117]
	v_add_f64 v[18:19], v[18:19], v[20:21]
	;; [unrolled: 1-line block ×3, first 2 shown]
	v_fmac_f64_e32 v[120:121], s[6:7], v[18:19]
	v_fmac_f64_e32 v[8:9], s[6:7], v[18:19]
	s_waitcnt lgkmcnt(10)
	v_add_f64 v[18:19], v[0:1], v[26:27]
	v_add_f64 v[0:1], v[116:117], v[34:35]
	v_fma_f64 v[20:21], -0.5, v[0:1], v[2:3]
	v_add_f64 v[0:1], v[44:45], -v[28:29]
	v_fma_f64 v[14:15], s[14:15], v[0:1], v[20:21]
	v_add_f64 v[30:31], v[118:119], -v[36:37]
	v_add_f64 v[54:55], v[42:43], -v[116:117]
	;; [unrolled: 1-line block ×3, first 2 shown]
	v_fmac_f64_e32 v[20:21], s[2:3], v[0:1]
	v_fmac_f64_e32 v[14:15], s[16:17], v[30:31]
	v_add_f64 v[54:55], v[54:55], v[60:61]
	v_fmac_f64_e32 v[20:21], s[4:5], v[30:31]
	v_fmac_f64_e32 v[14:15], s[6:7], v[54:55]
	v_fmac_f64_e32 v[20:21], s[6:7], v[54:55]
	v_add_f64 v[54:55], v[42:43], v[26:27]
	v_fmac_f64_e32 v[2:3], -0.5, v[54:55]
	v_fma_f64 v[54:55], s[2:3], v[30:31], v[2:3]
	v_fmac_f64_e32 v[2:3], s[14:15], v[30:31]
	v_fmac_f64_e32 v[54:55], s[16:17], v[0:1]
	;; [unrolled: 1-line block ×3, first 2 shown]
	v_add_f64 v[0:1], v[4:5], v[44:45]
	v_add_f64 v[0:1], v[0:1], v[118:119]
	;; [unrolled: 1-line block ×3, first 2 shown]
	v_add_f64 v[60:61], v[116:117], -v[42:43]
	v_add_f64 v[64:65], v[34:35], -v[26:27]
	v_add_f64 v[122:123], v[0:1], v[28:29]
	v_add_f64 v[0:1], v[118:119], v[36:37]
	;; [unrolled: 1-line block ×3, first 2 shown]
	v_fma_f64 v[0:1], -0.5, v[0:1], v[4:5]
	v_add_f64 v[26:27], v[42:43], -v[26:27]
	v_fmac_f64_e32 v[54:55], s[6:7], v[60:61]
	v_fmac_f64_e32 v[2:3], s[6:7], v[60:61]
	v_fma_f64 v[30:31], s[2:3], v[26:27], v[0:1]
	v_add_f64 v[34:35], v[116:117], -v[34:35]
	v_add_f64 v[42:43], v[44:45], -v[118:119]
	;; [unrolled: 1-line block ×3, first 2 shown]
	v_fmac_f64_e32 v[0:1], s[14:15], v[26:27]
	v_fmac_f64_e32 v[30:31], s[4:5], v[34:35]
	v_add_f64 v[42:43], v[42:43], v[60:61]
	v_fmac_f64_e32 v[0:1], s[16:17], v[34:35]
	v_fmac_f64_e32 v[30:31], s[6:7], v[42:43]
	;; [unrolled: 1-line block ×3, first 2 shown]
	v_add_f64 v[42:43], v[44:45], v[28:29]
	v_fmac_f64_e32 v[4:5], -0.5, v[42:43]
	v_fma_f64 v[42:43], s[14:15], v[34:35], v[4:5]
	v_add_f64 v[44:45], v[118:119], -v[44:45]
	v_add_f64 v[28:29], v[36:37], -v[28:29]
	v_fmac_f64_e32 v[4:5], s[2:3], v[34:35]
	v_fmac_f64_e32 v[42:43], s[4:5], v[26:27]
	v_add_f64 v[28:29], v[44:45], v[28:29]
	v_fmac_f64_e32 v[4:5], s[16:17], v[26:27]
	v_mul_f64 v[26:27], v[30:31], s[16:17]
	v_fmac_f64_e32 v[42:43], s[6:7], v[28:29]
	v_fmac_f64_e32 v[4:5], s[6:7], v[28:29]
	;; [unrolled: 1-line block ×3, first 2 shown]
	v_mul_f64 v[14:15], v[14:15], s[4:5]
	v_mul_f64 v[86:87], v[86:87], s[22:23]
	;; [unrolled: 1-line block ×3, first 2 shown]
	v_fmac_f64_e32 v[14:15], s[24:25], v[30:31]
	v_mul_f64 v[30:31], v[42:43], s[6:7]
	v_mul_f64 v[42:43], v[4:5], s[22:23]
	v_fmac_f64_e32 v[86:87], s[2:3], v[84:85]
	v_mul_f64 v[34:35], v[4:5], s[14:15]
	v_fmac_f64_e32 v[42:43], s[2:3], v[2:3]
	v_add_f64 v[162:163], v[66:67], v[86:87]
	v_add_f64 v[90:91], v[66:67], -v[86:87]
	v_fmac_f64_e32 v[34:35], s[22:23], v[2:3]
	v_add_f64 v[66:67], v[8:9], v[42:43]
	v_add_f64 v[2:3], v[8:9], -v[42:43]
	s_waitcnt lgkmcnt(7)
	v_add_f64 v[8:9], v[22:23], v[132:133]
	s_waitcnt lgkmcnt(5)
	v_add_f64 v[8:9], v[8:9], v[56:57]
	v_fmac_f64_e32 v[28:29], s[6:7], v[54:55]
	s_waitcnt lgkmcnt(3)
	v_add_f64 v[8:9], v[8:9], v[50:51]
	v_add_f64 v[76:77], v[62:63], v[26:27]
	;; [unrolled: 1-line block ×3, first 2 shown]
	v_add_f64 v[96:97], v[62:63], -v[26:27]
	v_add_f64 v[26:27], v[114:115], -v[28:29]
	s_waitcnt lgkmcnt(1)
	v_add_f64 v[114:115], v[8:9], v[46:47]
	v_add_f64 v[8:9], v[56:57], v[50:51]
	v_mul_f64 v[36:37], v[0:1], s[16:17]
	v_fmac_f64_e32 v[30:31], s[2:3], v[54:55]
	v_mul_f64 v[44:45], v[0:1], s[20:21]
	v_fma_f64 v[62:63], -0.5, v[8:9], v[22:23]
	v_add_f64 v[8:9], v[134:135], -v[48:49]
	v_fmac_f64_e32 v[36:37], s[20:21], v[20:21]
	v_add_f64 v[78:79], v[112:113], v[14:15]
	v_add_f64 v[86:87], v[120:121], v[30:31]
	v_fmac_f64_e32 v[44:45], s[4:5], v[20:21]
	v_add_f64 v[98:99], v[112:113], -v[14:15]
	v_add_f64 v[28:29], v[120:121], -v[30:31]
	v_fma_f64 v[118:119], s[14:15], v[8:9], v[62:63]
	v_add_f64 v[14:15], v[58:59], -v[52:53]
	v_add_f64 v[20:21], v[132:133], -v[56:57]
	;; [unrolled: 1-line block ×3, first 2 shown]
	v_fmac_f64_e32 v[62:63], s[2:3], v[8:9]
	v_fmac_f64_e32 v[118:119], s[16:17], v[14:15]
	v_add_f64 v[20:21], v[20:21], v[30:31]
	v_fmac_f64_e32 v[62:63], s[4:5], v[14:15]
	v_fmac_f64_e32 v[118:119], s[6:7], v[20:21]
	;; [unrolled: 1-line block ×3, first 2 shown]
	v_add_f64 v[20:21], v[132:133], v[46:47]
	v_fmac_f64_e32 v[22:23], -0.5, v[20:21]
	v_fma_f64 v[120:121], s[2:3], v[14:15], v[22:23]
	v_fmac_f64_e32 v[22:23], s[14:15], v[14:15]
	v_fmac_f64_e32 v[120:121], s[16:17], v[8:9]
	;; [unrolled: 1-line block ×3, first 2 shown]
	v_add_f64 v[8:9], v[24:25], v[134:135]
	v_add_f64 v[8:9], v[8:9], v[58:59]
	;; [unrolled: 1-line block ×3, first 2 shown]
	v_add_f64 v[20:21], v[56:57], -v[132:133]
	v_add_f64 v[30:31], v[50:51], -v[46:47]
	v_add_f64 v[116:117], v[8:9], v[48:49]
	v_add_f64 v[8:9], v[58:59], v[52:53]
	;; [unrolled: 1-line block ×3, first 2 shown]
	v_fma_f64 v[112:113], -0.5, v[8:9], v[24:25]
	v_add_f64 v[8:9], v[132:133], -v[46:47]
	v_fmac_f64_e32 v[120:121], s[6:7], v[20:21]
	v_fmac_f64_e32 v[22:23], s[6:7], v[20:21]
	v_fma_f64 v[54:55], s[2:3], v[8:9], v[112:113]
	v_add_f64 v[14:15], v[56:57], -v[50:51]
	v_add_f64 v[20:21], v[134:135], -v[58:59]
	;; [unrolled: 1-line block ×3, first 2 shown]
	v_fmac_f64_e32 v[112:113], s[14:15], v[8:9]
	v_fmac_f64_e32 v[54:55], s[4:5], v[14:15]
	v_add_f64 v[20:21], v[20:21], v[30:31]
	v_fmac_f64_e32 v[112:113], s[16:17], v[14:15]
	v_fmac_f64_e32 v[54:55], s[6:7], v[20:21]
	;; [unrolled: 1-line block ×3, first 2 shown]
	v_add_f64 v[20:21], v[134:135], v[48:49]
	v_fmac_f64_e32 v[24:25], -0.5, v[20:21]
	v_add_f64 v[72:73], v[16:17], v[18:19]
	v_add_f64 v[74:75], v[40:41], v[122:123]
	v_add_f64 v[16:17], v[16:17], -v[18:19]
	v_add_f64 v[18:19], v[40:41], -v[122:123]
	v_fma_f64 v[122:123], s[14:15], v[14:15], v[24:25]
	v_fmac_f64_e32 v[24:25], s[2:3], v[14:15]
	v_fmac_f64_e32 v[122:123], s[4:5], v[8:9]
	v_fmac_f64_e32 v[24:25], s[16:17], v[8:9]
	v_add_f64 v[8:9], v[10:11], v[128:129]
	v_add_f64 v[8:9], v[8:9], v[108:109]
	v_add_f64 v[8:9], v[8:9], v[104:105]
	v_add_f64 v[20:21], v[58:59], -v[134:135]
	v_add_f64 v[30:31], v[52:53], -v[48:49]
	s_waitcnt lgkmcnt(0)
	v_add_f64 v[52:53], v[8:9], v[80:81]
	v_add_f64 v[8:9], v[108:109], v[104:105]
	;; [unrolled: 1-line block ×3, first 2 shown]
	v_fma_f64 v[46:47], -0.5, v[8:9], v[10:11]
	v_add_f64 v[8:9], v[130:131], -v[82:83]
	v_add_f64 v[68:69], v[32:33], v[36:37]
	v_add_f64 v[4:5], v[32:33], -v[36:37]
	v_fmac_f64_e32 v[122:123], s[6:7], v[20:21]
	v_fmac_f64_e32 v[24:25], s[6:7], v[20:21]
	v_fma_f64 v[14:15], s[14:15], v[8:9], v[46:47]
	v_add_f64 v[20:21], v[110:111], -v[106:107]
	v_add_f64 v[30:31], v[128:129], -v[108:109]
	;; [unrolled: 1-line block ×3, first 2 shown]
	v_fmac_f64_e32 v[46:47], s[2:3], v[8:9]
	v_fmac_f64_e32 v[14:15], s[16:17], v[20:21]
	v_add_f64 v[30:31], v[30:31], v[32:33]
	v_fmac_f64_e32 v[46:47], s[4:5], v[20:21]
	v_fmac_f64_e32 v[14:15], s[6:7], v[30:31]
	;; [unrolled: 1-line block ×3, first 2 shown]
	v_add_f64 v[30:31], v[128:129], v[80:81]
	v_fmac_f64_e32 v[10:11], -0.5, v[30:31]
	v_fma_f64 v[30:31], s[2:3], v[20:21], v[10:11]
	v_fmac_f64_e32 v[10:11], s[14:15], v[20:21]
	v_fmac_f64_e32 v[30:31], s[16:17], v[8:9]
	;; [unrolled: 1-line block ×3, first 2 shown]
	v_add_f64 v[8:9], v[12:13], v[130:131]
	v_add_f64 v[8:9], v[8:9], v[110:111]
	;; [unrolled: 1-line block ×4, first 2 shown]
	v_add_f64 v[0:1], v[6:7], -v[34:35]
	v_add_f64 v[32:33], v[108:109], -v[128:129]
	;; [unrolled: 1-line block ×3, first 2 shown]
	v_add_f64 v[124:125], v[8:9], v[82:83]
	v_add_f64 v[8:9], v[110:111], v[106:107]
	v_add_f64 v[32:33], v[32:33], v[34:35]
	v_fma_f64 v[8:9], -0.5, v[8:9], v[12:13]
	v_add_f64 v[20:21], v[128:129], -v[80:81]
	v_add_f64 v[70:71], v[38:39], v[44:45]
	v_add_f64 v[6:7], v[38:39], -v[44:45]
	v_fmac_f64_e32 v[30:31], s[6:7], v[32:33]
	v_fmac_f64_e32 v[10:11], s[6:7], v[32:33]
	v_fma_f64 v[34:35], s[2:3], v[20:21], v[8:9]
	v_add_f64 v[32:33], v[108:109], -v[104:105]
	v_add_f64 v[36:37], v[130:131], -v[110:111]
	;; [unrolled: 1-line block ×3, first 2 shown]
	v_fmac_f64_e32 v[8:9], s[14:15], v[20:21]
	v_fmac_f64_e32 v[34:35], s[4:5], v[32:33]
	v_add_f64 v[36:37], v[36:37], v[38:39]
	v_fmac_f64_e32 v[8:9], s[16:17], v[32:33]
	v_fmac_f64_e32 v[34:35], s[6:7], v[36:37]
	;; [unrolled: 1-line block ×3, first 2 shown]
	v_add_f64 v[36:37], v[130:131], v[82:83]
	v_fmac_f64_e32 v[12:13], -0.5, v[36:37]
	v_fma_f64 v[50:51], s[14:15], v[32:33], v[12:13]
	v_add_f64 v[36:37], v[110:111], -v[130:131]
	v_add_f64 v[38:39], v[106:107], -v[82:83]
	v_fmac_f64_e32 v[50:51], s[4:5], v[20:21]
	v_add_f64 v[36:37], v[36:37], v[38:39]
	v_fmac_f64_e32 v[12:13], s[2:3], v[32:33]
	v_fmac_f64_e32 v[50:51], s[6:7], v[36:37]
	;; [unrolled: 1-line block ×4, first 2 shown]
	v_mul_f64 v[20:21], v[34:35], s[16:17]
	v_mul_f64 v[58:59], v[50:51], s[14:15]
	;; [unrolled: 1-line block ×3, first 2 shown]
	v_fmac_f64_e32 v[20:21], s[24:25], v[14:15]
	v_fmac_f64_e32 v[58:59], s[6:7], v[30:31]
	v_mul_f64 v[60:61], v[12:13], s[14:15]
	v_mul_f64 v[80:81], v[8:9], s[16:17]
	;; [unrolled: 1-line block ×3, first 2 shown]
	v_fmac_f64_e32 v[82:83], s[2:3], v[30:31]
	v_mul_f64 v[30:31], v[12:13], s[22:23]
	v_mul_f64 v[104:105], v[8:9], s[20:21]
	v_fmac_f64_e32 v[60:61], s[22:23], v[10:11]
	v_fmac_f64_e32 v[80:81], s[20:21], v[46:47]
	;; [unrolled: 1-line block ×5, first 2 shown]
	v_add_f64 v[40:41], v[114:115], v[52:53]
	v_add_f64 v[36:37], v[118:119], v[20:21]
	;; [unrolled: 1-line block ×10, first 2 shown]
	v_add_f64 v[56:57], v[114:115], -v[52:53]
	v_add_f64 v[52:53], v[118:119], -v[20:21]
	;; [unrolled: 1-line block ×10, first 2 shown]
	s_waitcnt lgkmcnt(0)
	; wave barrier
	ds_write_b128 v236, v[164:167]
	ds_write_b128 v236, v[168:171] offset:16
	ds_write_b128 v236, v[172:175] offset:32
	ds_write_b128 v236, v[160:163] offset:48
	ds_write_b128 v236, v[208:211] offset:64
	ds_write_b128 v236, v[152:155] offset:80
	ds_write_b128 v236, v[156:159] offset:96
	ds_write_b128 v236, v[100:103] offset:112
	ds_write_b128 v236, v[88:91] offset:128
	ds_write_b128 v236, v[92:95] offset:144
	ds_write_b128 v243, v[72:75]
	ds_write_b128 v243, v[76:79] offset:16
	ds_write_b128 v243, v[84:87] offset:32
	ds_write_b128 v243, v[64:67] offset:48
	ds_write_b128 v243, v[68:71] offset:64
	ds_write_b128 v243, v[16:19] offset:80
	ds_write_b128 v243, v[96:99] offset:96
	ds_write_b128 v243, v[26:29] offset:112
	ds_write_b128 v243, v[0:3] offset:128
	ds_write_b128 v243, v[4:7] offset:144
	;; [unrolled: 10-line block ×3, first 2 shown]
	s_waitcnt lgkmcnt(0)
	; wave barrier
	s_waitcnt lgkmcnt(0)
	ds_read_b128 v[0:3], v237
	ds_read_b128 v[116:119], v237 offset:480
	ds_read_b128 v[112:115], v237 offset:960
	;; [unrolled: 1-line block ×29, first 2 shown]
	s_waitcnt lgkmcnt(14)
	v_mul_f64 v[160:161], v[178:179], v[114:115]
	v_mul_f64 v[120:121], v[146:147], v[86:87]
	v_mul_f64 v[156:157], v[146:147], v[118:119]
	v_fmac_f64_e32 v[160:161], v[176:177], v[112:113]
	v_mul_f64 v[112:113], v[178:179], v[112:113]
	v_fmac_f64_e32 v[120:121], v[144:145], v[84:85]
	v_mul_f64 v[84:85], v[146:147], v[84:85]
	;; [unrolled: 2-line block ×3, first 2 shown]
	v_fma_f64 v[152:153], v[176:177], v[114:115], -v[112:113]
	v_fma_f64 v[112:113], v[144:145], v[86:87], -v[84:85]
	v_mul_f64 v[146:147], v[178:179], v[82:83]
	s_waitcnt lgkmcnt(10)
	v_mul_f64 v[86:87], v[186:187], v[58:59]
	v_mul_f64 v[164:165], v[240:241], v[106:107]
	v_fmac_f64_e32 v[146:147], v[176:177], v[80:81]
	v_mul_f64 v[80:81], v[178:179], v[80:81]
	v_fmac_f64_e32 v[86:87], v[184:185], v[56:57]
	;; [unrolled: 2-line block ×3, first 2 shown]
	v_mul_f64 v[104:105], v[240:241], v[104:105]
	v_fma_f64 v[130:131], v[176:177], v[82:83], -v[80:81]
	v_fma_f64 v[82:83], v[184:185], v[58:59], -v[56:57]
	v_accvgpr_read_b32 v56, a126
	v_fma_f64 v[158:159], v[238:239], v[106:107], -v[104:105]
	v_mul_f64 v[104:105], v[150:151], v[102:103]
	v_accvgpr_read_b32 v58, a128
	v_accvgpr_read_b32 v59, a129
	v_fmac_f64_e32 v[104:105], v[148:149], v[100:101]
	v_mul_f64 v[100:101], v[150:151], v[100:101]
	v_accvgpr_read_b32 v57, a127
	s_waitcnt lgkmcnt(8)
	v_mul_f64 v[126:127], v[58:59], v[54:55]
	v_fma_f64 v[100:101], v[148:149], v[102:103], -v[100:101]
	v_mul_f64 v[102:103], v[142:143], v[98:99]
	v_fmac_f64_e32 v[126:127], v[56:57], v[52:53]
	v_mul_f64 v[52:53], v[58:59], v[52:53]
	v_fmac_f64_e32 v[102:103], v[140:141], v[96:97]
	v_mul_f64 v[96:97], v[142:143], v[96:97]
	v_fma_f64 v[128:129], v[56:57], v[54:55], -v[52:53]
	v_accvgpr_read_b32 v52, a130
	v_fma_f64 v[96:97], v[140:141], v[98:99], -v[96:97]
	v_mul_f64 v[98:99], v[138:139], v[94:95]
	v_mul_f64 v[178:179], v[138:139], v[62:63]
	v_accvgpr_read_b32 v54, a132
	v_accvgpr_read_b32 v55, a133
	v_fmac_f64_e32 v[98:99], v[136:137], v[92:93]
	v_mul_f64 v[92:93], v[138:139], v[92:93]
	v_fmac_f64_e32 v[178:179], v[136:137], v[60:61]
	v_mul_f64 v[60:61], v[138:139], v[60:61]
	v_accvgpr_read_b32 v53, a131
	s_waitcnt lgkmcnt(7)
	v_mul_f64 v[138:139], v[54:55], v[50:51]
	v_fmac_f64_e32 v[138:139], v[52:53], v[48:49]
	v_mul_f64 v[48:49], v[54:55], v[48:49]
	v_fma_f64 v[132:133], v[52:53], v[50:51], -v[48:49]
	v_accvgpr_read_b32 v48, a134
	v_accvgpr_read_b32 v50, a136
	;; [unrolled: 1-line block ×4, first 2 shown]
	s_waitcnt lgkmcnt(6)
	v_mul_f64 v[168:169], v[50:51], v[46:47]
	v_fma_f64 v[122:123], v[144:145], v[118:119], -v[116:117]
	v_mul_f64 v[144:145], v[150:151], v[70:71]
	v_fmac_f64_e32 v[168:169], v[48:49], v[44:45]
	v_mul_f64 v[44:45], v[50:51], v[44:45]
	v_fma_f64 v[92:93], v[136:137], v[94:95], -v[92:93]
	v_fmac_f64_e32 v[144:145], v[148:149], v[68:69]
	v_mul_f64 v[68:69], v[150:151], v[68:69]
	v_fma_f64 v[150:151], v[136:137], v[62:63], -v[60:61]
	v_fma_f64 v[136:137], v[48:49], v[46:47], -v[44:45]
	v_accvgpr_read_b32 v44, a138
	v_accvgpr_read_b32 v46, a140
	;; [unrolled: 1-line block ×4, first 2 shown]
	s_waitcnt lgkmcnt(5)
	v_mul_f64 v[176:177], v[46:47], v[42:43]
	v_fma_f64 v[124:125], v[148:149], v[70:71], -v[68:69]
	v_mul_f64 v[148:149], v[142:143], v[66:67]
	v_fmac_f64_e32 v[176:177], v[44:45], v[40:41]
	v_mul_f64 v[40:41], v[46:47], v[40:41]
	v_mul_f64 v[162:163], v[206:207], v[110:111]
	v_fmac_f64_e32 v[148:149], v[140:141], v[64:65]
	v_mul_f64 v[64:65], v[142:143], v[64:65]
	v_fma_f64 v[142:143], v[44:45], v[42:43], -v[40:41]
	v_accvgpr_read_b32 v40, a142
	v_fmac_f64_e32 v[162:163], v[204:205], v[108:109]
	v_mul_f64 v[108:109], v[206:207], v[108:109]
	v_accvgpr_read_b32 v42, a144
	v_accvgpr_read_b32 v43, a145
	v_fma_f64 v[154:155], v[204:205], v[110:111], -v[108:109]
	v_mul_f64 v[106:107], v[186:187], v[90:91]
	v_accvgpr_read_b32 v41, a143
	s_waitcnt lgkmcnt(3)
	v_mul_f64 v[108:109], v[42:43], v[38:39]
	v_fmac_f64_e32 v[106:107], v[184:185], v[88:89]
	v_mul_f64 v[88:89], v[186:187], v[88:89]
	v_fmac_f64_e32 v[108:109], v[40:41], v[36:37]
	v_mul_f64 v[36:37], v[42:43], v[36:37]
	v_fma_f64 v[88:89], v[184:185], v[90:91], -v[88:89]
	v_fma_f64 v[90:91], v[40:41], v[38:39], -v[36:37]
	v_accvgpr_read_b32 v36, a146
	v_accvgpr_read_b32 v38, a148
	v_accvgpr_read_b32 v39, a149
	v_accvgpr_read_b32 v37, a147
	s_waitcnt lgkmcnt(2)
	v_mul_f64 v[114:115], v[38:39], v[34:35]
	v_fmac_f64_e32 v[114:115], v[36:37], v[32:33]
	v_mul_f64 v[32:33], v[38:39], v[32:33]
	v_fma_f64 v[94:95], v[36:37], v[34:35], -v[32:33]
	v_accvgpr_read_b32 v32, a150
	v_accvgpr_read_b32 v34, a152
	v_accvgpr_read_b32 v35, a153
	v_accvgpr_read_b32 v33, a151
	s_waitcnt lgkmcnt(1)
	v_mul_f64 v[118:119], v[34:35], v[30:31]
	v_fmac_f64_e32 v[118:119], v[32:33], v[28:29]
	v_mul_f64 v[28:29], v[34:35], v[28:29]
	;; [unrolled: 9-line block ×3, first 2 shown]
	v_fma_f64 v[116:117], v[28:29], v[26:27], -v[24:25]
	v_add_f64 v[24:25], v[0:1], v[156:157]
	v_add_f64 v[24:25], v[24:25], v[160:161]
	;; [unrolled: 1-line block ×3, first 2 shown]
	v_mul_f64 v[170:171], v[206:207], v[78:79]
	v_add_f64 v[184:185], v[24:25], v[164:165]
	v_add_f64 v[24:25], v[160:161], v[162:163]
	v_fmac_f64_e32 v[170:171], v[204:205], v[76:77]
	v_mul_f64 v[76:77], v[206:207], v[76:77]
	v_fma_f64 v[56:57], -0.5, v[24:25], v[0:1]
	v_add_f64 v[24:25], v[122:123], -v[158:159]
	v_fma_f64 v[166:167], v[204:205], v[78:79], -v[76:77]
	v_fma_f64 v[76:77], s[14:15], v[24:25], v[56:57]
	v_add_f64 v[26:27], v[152:153], -v[154:155]
	v_add_f64 v[28:29], v[156:157], -v[160:161]
	v_add_f64 v[30:31], v[164:165], -v[162:163]
	v_fmac_f64_e32 v[56:57], s[2:3], v[24:25]
	v_fmac_f64_e32 v[76:77], s[16:17], v[26:27]
	v_add_f64 v[28:29], v[28:29], v[30:31]
	v_fmac_f64_e32 v[56:57], s[4:5], v[26:27]
	v_fmac_f64_e32 v[76:77], s[6:7], v[28:29]
	;; [unrolled: 1-line block ×3, first 2 shown]
	v_add_f64 v[28:29], v[156:157], v[164:165]
	v_fmac_f64_e32 v[0:1], -0.5, v[28:29]
	v_fma_f64 v[68:69], s[2:3], v[26:27], v[0:1]
	v_fmac_f64_e32 v[0:1], s[14:15], v[26:27]
	v_fmac_f64_e32 v[68:69], s[16:17], v[24:25]
	;; [unrolled: 1-line block ×3, first 2 shown]
	v_add_f64 v[24:25], v[2:3], v[122:123]
	v_add_f64 v[24:25], v[24:25], v[152:153]
	v_add_f64 v[24:25], v[24:25], v[154:155]
	v_add_f64 v[28:29], v[160:161], -v[156:157]
	v_add_f64 v[30:31], v[162:163], -v[164:165]
	v_add_f64 v[186:187], v[24:25], v[158:159]
	v_add_f64 v[24:25], v[152:153], v[154:155]
	;; [unrolled: 1-line block ×3, first 2 shown]
	v_fma_f64 v[58:59], -0.5, v[24:25], v[2:3]
	v_add_f64 v[24:25], v[156:157], -v[164:165]
	v_fmac_f64_e32 v[68:69], s[6:7], v[28:29]
	v_fmac_f64_e32 v[0:1], s[6:7], v[28:29]
	v_fma_f64 v[78:79], s[2:3], v[24:25], v[58:59]
	v_add_f64 v[26:27], v[160:161], -v[162:163]
	v_add_f64 v[28:29], v[122:123], -v[152:153]
	;; [unrolled: 1-line block ×3, first 2 shown]
	v_fmac_f64_e32 v[58:59], s[14:15], v[24:25]
	v_fmac_f64_e32 v[78:79], s[4:5], v[26:27]
	v_add_f64 v[28:29], v[28:29], v[30:31]
	v_fmac_f64_e32 v[58:59], s[16:17], v[26:27]
	v_fmac_f64_e32 v[78:79], s[6:7], v[28:29]
	v_fmac_f64_e32 v[58:59], s[6:7], v[28:29]
	v_add_f64 v[28:29], v[122:123], v[158:159]
	v_fmac_f64_e32 v[2:3], -0.5, v[28:29]
	v_fma_f64 v[70:71], s[14:15], v[26:27], v[2:3]
	v_fmac_f64_e32 v[2:3], s[2:3], v[26:27]
	v_fmac_f64_e32 v[70:71], s[4:5], v[24:25]
	;; [unrolled: 1-line block ×3, first 2 shown]
	v_add_f64 v[24:25], v[4:5], v[104:105]
	v_add_f64 v[24:25], v[24:25], v[102:103]
	;; [unrolled: 1-line block ×3, first 2 shown]
	v_mul_f64 v[84:85], v[240:241], v[74:75]
	v_add_f64 v[28:29], v[152:153], -v[122:123]
	v_add_f64 v[30:31], v[154:155], -v[158:159]
	v_add_f64 v[152:153], v[24:25], v[106:107]
	v_add_f64 v[24:25], v[102:103], v[98:99]
	v_fmac_f64_e32 v[84:85], v[238:239], v[72:73]
	v_mul_f64 v[72:73], v[240:241], v[72:73]
	v_add_f64 v[28:29], v[28:29], v[30:31]
	v_fma_f64 v[52:53], -0.5, v[24:25], v[4:5]
	v_add_f64 v[24:25], v[100:101], -v[88:89]
	v_fma_f64 v[80:81], v[238:239], v[74:75], -v[72:73]
	v_fmac_f64_e32 v[70:71], s[6:7], v[28:29]
	v_fmac_f64_e32 v[2:3], s[6:7], v[28:29]
	v_fma_f64 v[72:73], s[14:15], v[24:25], v[52:53]
	v_add_f64 v[26:27], v[96:97], -v[92:93]
	v_add_f64 v[28:29], v[104:105], -v[102:103]
	;; [unrolled: 1-line block ×3, first 2 shown]
	v_fmac_f64_e32 v[52:53], s[2:3], v[24:25]
	v_fmac_f64_e32 v[72:73], s[16:17], v[26:27]
	v_add_f64 v[28:29], v[28:29], v[30:31]
	v_fmac_f64_e32 v[52:53], s[4:5], v[26:27]
	v_fmac_f64_e32 v[72:73], s[6:7], v[28:29]
	;; [unrolled: 1-line block ×3, first 2 shown]
	v_add_f64 v[28:29], v[104:105], v[106:107]
	v_fmac_f64_e32 v[4:5], -0.5, v[28:29]
	v_fma_f64 v[140:141], v[140:141], v[66:67], -v[64:65]
	v_fma_f64 v[64:65], s[2:3], v[26:27], v[4:5]
	v_fmac_f64_e32 v[4:5], s[14:15], v[26:27]
	v_fmac_f64_e32 v[64:65], s[16:17], v[24:25]
	v_fmac_f64_e32 v[4:5], s[4:5], v[24:25]
	v_add_f64 v[24:25], v[6:7], v[100:101]
	v_add_f64 v[24:25], v[24:25], v[96:97]
	v_add_f64 v[24:25], v[24:25], v[92:93]
	v_add_f64 v[28:29], v[102:103], -v[104:105]
	v_add_f64 v[30:31], v[98:99], -v[106:107]
	v_add_f64 v[154:155], v[24:25], v[88:89]
	v_add_f64 v[24:25], v[96:97], v[92:93]
	v_add_f64 v[28:29], v[28:29], v[30:31]
	v_fma_f64 v[54:55], -0.5, v[24:25], v[6:7]
	v_add_f64 v[24:25], v[104:105], -v[106:107]
	v_fmac_f64_e32 v[64:65], s[6:7], v[28:29]
	v_fmac_f64_e32 v[4:5], s[6:7], v[28:29]
	v_fma_f64 v[74:75], s[2:3], v[24:25], v[54:55]
	v_add_f64 v[26:27], v[102:103], -v[98:99]
	v_add_f64 v[28:29], v[100:101], -v[96:97]
	v_add_f64 v[30:31], v[88:89], -v[92:93]
	v_fmac_f64_e32 v[54:55], s[14:15], v[24:25]
	v_fmac_f64_e32 v[74:75], s[4:5], v[26:27]
	v_add_f64 v[28:29], v[28:29], v[30:31]
	v_fmac_f64_e32 v[54:55], s[16:17], v[26:27]
	v_fmac_f64_e32 v[74:75], s[6:7], v[28:29]
	v_fmac_f64_e32 v[54:55], s[6:7], v[28:29]
	v_add_f64 v[28:29], v[100:101], v[88:89]
	v_fmac_f64_e32 v[6:7], -0.5, v[28:29]
	v_fma_f64 v[66:67], s[14:15], v[26:27], v[6:7]
	v_fmac_f64_e32 v[6:7], s[2:3], v[26:27]
	v_fmac_f64_e32 v[66:67], s[4:5], v[24:25]
	v_fmac_f64_e32 v[6:7], s[16:17], v[24:25]
	v_add_f64 v[24:25], v[8:9], v[120:121]
	v_add_f64 v[24:25], v[24:25], v[146:147]
	v_add_f64 v[24:25], v[24:25], v[170:171]
	v_add_f64 v[28:29], v[96:97], -v[100:101]
	v_add_f64 v[30:31], v[92:93], -v[88:89]
	v_add_f64 v[60:61], v[24:25], v[84:85]
	v_add_f64 v[24:25], v[146:147], v[170:171]
	v_add_f64 v[28:29], v[28:29], v[30:31]
	v_fma_f64 v[36:37], -0.5, v[24:25], v[8:9]
	v_add_f64 v[24:25], v[112:113], -v[80:81]
	v_fmac_f64_e32 v[66:67], s[6:7], v[28:29]
	v_fmac_f64_e32 v[6:7], s[6:7], v[28:29]
	v_fma_f64 v[48:49], s[14:15], v[24:25], v[36:37]
	v_add_f64 v[26:27], v[130:131], -v[166:167]
	v_add_f64 v[28:29], v[120:121], -v[146:147]
	v_add_f64 v[30:31], v[84:85], -v[170:171]
	v_fmac_f64_e32 v[36:37], s[2:3], v[24:25]
	v_fmac_f64_e32 v[48:49], s[16:17], v[26:27]
	v_add_f64 v[28:29], v[28:29], v[30:31]
	v_fmac_f64_e32 v[36:37], s[4:5], v[26:27]
	v_fmac_f64_e32 v[48:49], s[6:7], v[28:29]
	v_fmac_f64_e32 v[36:37], s[6:7], v[28:29]
	v_add_f64 v[28:29], v[120:121], v[84:85]
	v_fmac_f64_e32 v[8:9], -0.5, v[28:29]
	;; [unrolled: 28-line block ×4, first 2 shown]
	v_fma_f64 v[28:29], s[2:3], v[30:31], v[12:13]
	v_fmac_f64_e32 v[12:13], s[14:15], v[30:31]
	v_fmac_f64_e32 v[28:29], s[16:17], v[26:27]
	;; [unrolled: 1-line block ×3, first 2 shown]
	v_add_f64 v[26:27], v[14:15], v[124:125]
	v_add_f64 v[26:27], v[26:27], v[140:141]
	v_add_f64 v[34:35], v[148:149], -v[144:145]
	v_add_f64 v[42:43], v[178:179], -v[86:87]
	v_add_f64 v[26:27], v[26:27], v[150:151]
	v_add_f64 v[34:35], v[34:35], v[42:43]
	;; [unrolled: 1-line block ×4, first 2 shown]
	v_fma_f64 v[26:27], -0.5, v[26:27], v[14:15]
	v_add_f64 v[80:81], v[144:145], -v[86:87]
	v_fmac_f64_e32 v[28:29], s[6:7], v[34:35]
	v_fmac_f64_e32 v[12:13], s[6:7], v[34:35]
	v_fma_f64 v[34:35], s[2:3], v[80:81], v[26:27]
	v_add_f64 v[84:85], v[148:149], -v[178:179]
	v_add_f64 v[30:31], v[124:125], -v[140:141]
	v_add_f64 v[86:87], v[82:83], -v[150:151]
	v_fmac_f64_e32 v[26:27], s[14:15], v[80:81]
	v_fmac_f64_e32 v[34:35], s[4:5], v[84:85]
	v_add_f64 v[30:31], v[30:31], v[86:87]
	v_fmac_f64_e32 v[26:27], s[16:17], v[84:85]
	v_fmac_f64_e32 v[34:35], s[6:7], v[30:31]
	v_fmac_f64_e32 v[26:27], s[6:7], v[30:31]
	v_add_f64 v[30:31], v[124:125], v[82:83]
	v_fmac_f64_e32 v[14:15], -0.5, v[30:31]
	v_fma_f64 v[30:31], s[14:15], v[84:85], v[14:15]
	v_fmac_f64_e32 v[14:15], s[2:3], v[84:85]
	v_fmac_f64_e32 v[30:31], s[4:5], v[80:81]
	v_fmac_f64_e32 v[14:15], s[16:17], v[80:81]
	v_add_f64 v[80:81], v[16:17], v[126:127]
	v_add_f64 v[80:81], v[80:81], v[138:139]
	v_add_f64 v[80:81], v[80:81], v[168:169]
	v_add_f64 v[86:87], v[140:141], -v[124:125]
	v_add_f64 v[82:83], v[150:151], -v[82:83]
	v_add_f64 v[148:149], v[80:81], v[176:177]
	v_add_f64 v[80:81], v[138:139], v[168:169]
	v_add_f64 v[82:83], v[86:87], v[82:83]
	v_fma_f64 v[120:121], -0.5, v[80:81], v[16:17]
	v_add_f64 v[80:81], v[128:129], -v[142:143]
	v_fmac_f64_e32 v[30:31], s[6:7], v[82:83]
	v_fmac_f64_e32 v[14:15], s[6:7], v[82:83]
	v_fma_f64 v[144:145], s[14:15], v[80:81], v[120:121]
	v_add_f64 v[82:83], v[132:133], -v[136:137]
	v_add_f64 v[84:85], v[126:127], -v[138:139]
	v_add_f64 v[86:87], v[176:177], -v[168:169]
	v_fmac_f64_e32 v[120:121], s[2:3], v[80:81]
	v_fmac_f64_e32 v[144:145], s[16:17], v[82:83]
	v_add_f64 v[84:85], v[84:85], v[86:87]
	v_fmac_f64_e32 v[120:121], s[4:5], v[82:83]
	v_fmac_f64_e32 v[144:145], s[6:7], v[84:85]
	v_fmac_f64_e32 v[120:121], s[6:7], v[84:85]
	v_add_f64 v[84:85], v[126:127], v[176:177]
	v_fmac_f64_e32 v[16:17], -0.5, v[84:85]
	v_fma_f64 v[124:125], s[2:3], v[82:83], v[16:17]
	v_fmac_f64_e32 v[16:17], s[14:15], v[82:83]
	v_fmac_f64_e32 v[124:125], s[16:17], v[80:81]
	v_fmac_f64_e32 v[16:17], s[4:5], v[80:81]
	v_add_f64 v[80:81], v[18:19], v[128:129]
	v_add_f64 v[80:81], v[80:81], v[132:133]
	v_add_f64 v[80:81], v[80:81], v[136:137]
	v_add_f64 v[84:85], v[138:139], -v[126:127]
	v_add_f64 v[86:87], v[168:169], -v[176:177]
	v_add_f64 v[150:151], v[80:81], v[142:143]
	v_add_f64 v[80:81], v[132:133], v[136:137]
	v_add_f64 v[84:85], v[84:85], v[86:87]
	;; [unrolled: 28-line block ×4, first 2 shown]
	v_fma_f64 v[130:131], -0.5, v[80:81], v[22:23]
	v_add_f64 v[80:81], v[108:109], -v[134:135]
	v_fmac_f64_e32 v[140:141], s[6:7], v[84:85]
	v_fmac_f64_e32 v[20:21], s[6:7], v[84:85]
	v_fma_f64 v[134:135], s[2:3], v[80:81], v[130:131]
	v_add_f64 v[82:83], v[114:115], -v[118:119]
	v_add_f64 v[84:85], v[90:91], -v[94:95]
	;; [unrolled: 1-line block ×3, first 2 shown]
	v_fmac_f64_e32 v[130:131], s[14:15], v[80:81]
	v_fmac_f64_e32 v[134:135], s[4:5], v[82:83]
	v_add_f64 v[84:85], v[84:85], v[86:87]
	v_fmac_f64_e32 v[130:131], s[16:17], v[82:83]
	v_fmac_f64_e32 v[134:135], s[6:7], v[84:85]
	;; [unrolled: 1-line block ×3, first 2 shown]
	v_add_f64 v[84:85], v[90:91], v[116:117]
	v_fmac_f64_e32 v[22:23], -0.5, v[84:85]
	v_fma_f64 v[142:143], s[14:15], v[82:83], v[22:23]
	v_add_f64 v[84:85], v[94:95], -v[90:91]
	v_add_f64 v[86:87], v[110:111], -v[116:117]
	v_fmac_f64_e32 v[22:23], s[2:3], v[82:83]
	v_fmac_f64_e32 v[142:143], s[4:5], v[80:81]
	v_add_f64 v[84:85], v[84:85], v[86:87]
	v_fmac_f64_e32 v[22:23], s[16:17], v[80:81]
	v_fmac_f64_e32 v[142:143], s[6:7], v[84:85]
	;; [unrolled: 1-line block ×3, first 2 shown]
	s_waitcnt lgkmcnt(0)
	; wave barrier
	ds_write_b128 v237, v[184:187]
	ds_write_b128 v237, v[76:79] offset:160
	ds_write_b128 v237, v[68:71] offset:320
	;; [unrolled: 1-line block ×29, first 2 shown]
	v_accvgpr_read_b32 v120, a162
	v_accvgpr_read_b32 v122, a164
	;; [unrolled: 1-line block ×3, first 2 shown]
	s_waitcnt lgkmcnt(0)
	; wave barrier
	s_waitcnt lgkmcnt(0)
	ds_read_b128 v[20:23], v237
	ds_read_b128 v[84:87], v237 offset:800
	ds_read_b128 v[76:79], v237 offset:1600
	ds_read_b128 v[28:31], v237 offset:80
	ds_read_b128 v[108:111], v237 offset:880
	ds_read_b128 v[112:115], v237 offset:1680
	ds_read_b128 v[36:39], v237 offset:160
	ds_read_b128 v[116:119], v237 offset:960
	ds_read_b128 v[104:107], v237 offset:1760
	ds_read_b128 v[32:35], v237 offset:240
	ds_read_b128 v[100:103], v237 offset:1040
	ds_read_b128 v[96:99], v237 offset:1840
	ds_read_b128 v[24:27], v237 offset:320
	ds_read_b128 v[92:95], v237 offset:1120
	ds_read_b128 v[88:91], v237 offset:1920
	ds_read_b128 v[16:19], v237 offset:400
	ds_read_b128 v[80:83], v237 offset:1200
	ds_read_b128 v[72:75], v237 offset:2000
	ds_read_b128 v[12:15], v237 offset:480
	ds_read_b128 v[68:71], v237 offset:1280
	ds_read_b128 v[64:67], v237 offset:2080
	ds_read_b128 v[8:11], v237 offset:560
	ds_read_b128 v[60:63], v237 offset:1360
	ds_read_b128 v[56:59], v237 offset:2160
	ds_read_b128 v[4:7], v237 offset:640
	ds_read_b128 v[52:55], v237 offset:1440
	ds_read_b128 v[48:51], v237 offset:2240
	ds_read_b128 v[0:3], v237 offset:720
	ds_read_b128 v[44:47], v237 offset:1520
	ds_read_b128 v[40:43], v237 offset:2320
	v_accvgpr_read_b32 v121, a163
	s_waitcnt lgkmcnt(14)
	v_mul_f64 v[128:129], v[122:123], v[86:87]
	v_fmac_f64_e32 v[128:129], v[120:121], v[84:85]
	v_mul_f64 v[84:85], v[122:123], v[84:85]
	v_fma_f64 v[84:85], v[120:121], v[86:87], -v[84:85]
	v_accvgpr_read_b32 v120, a158
	v_accvgpr_read_b32 v122, a160
	v_accvgpr_read_b32 v123, a161
	v_accvgpr_read_b32 v121, a159
	v_mul_f64 v[86:87], v[122:123], v[78:79]
	v_fmac_f64_e32 v[86:87], v[120:121], v[76:77]
	v_mul_f64 v[76:77], v[122:123], v[76:77]
	v_fma_f64 v[76:77], v[120:121], v[78:79], -v[76:77]
	v_accvgpr_read_b32 v120, a170
	v_accvgpr_read_b32 v122, a172
	v_accvgpr_read_b32 v123, a173
	v_accvgpr_read_b32 v121, a171
	;; [unrolled: 8-line block ×3, first 2 shown]
	v_mul_f64 v[108:109], v[122:123], v[112:113]
	v_fma_f64 v[134:135], v[120:121], v[114:115], -v[108:109]
	v_mul_f64 v[108:109], v[198:199], v[116:117]
	v_mul_f64 v[136:137], v[198:199], v[118:119]
	v_fma_f64 v[118:119], v[196:197], v[118:119], -v[108:109]
	v_accvgpr_read_b32 v108, a174
	v_accvgpr_read_b32 v110, a176
	v_accvgpr_read_b32 v111, a177
	v_accvgpr_read_b32 v109, a175
	v_mul_f64 v[138:139], v[110:111], v[106:107]
	v_fmac_f64_e32 v[138:139], v[108:109], v[104:105]
	v_mul_f64 v[104:105], v[110:111], v[104:105]
	v_fma_f64 v[140:141], v[108:109], v[106:107], -v[104:105]
	v_accvgpr_read_b32 v104, a178
	v_accvgpr_read_b32 v106, a180
	v_accvgpr_read_b32 v107, a181
	v_accvgpr_read_b32 v105, a179
	v_mul_f64 v[142:143], v[106:107], v[102:103]
	v_fmac_f64_e32 v[142:143], v[104:105], v[100:101]
	;; [unrolled: 8-line block ×3, first 2 shown]
	v_mul_f64 v[96:97], v[104:105], v[96:97]
	v_fma_f64 v[96:97], v[102:103], v[98:99], -v[96:97]
	v_mul_f64 v[98:99], v[222:223], v[94:95]
	v_mul_f64 v[132:133], v[122:123], v[114:115]
	v_fmac_f64_e32 v[98:99], v[220:221], v[92:93]
	v_mul_f64 v[92:93], v[222:223], v[92:93]
	s_waitcnt lgkmcnt(0)
	v_mul_f64 v[122:123], v[202:203], v[42:43]
	v_fma_f64 v[92:93], v[220:221], v[94:95], -v[92:93]
	v_mul_f64 v[94:95], v[194:195], v[70:71]
	v_fmac_f64_e32 v[122:123], v[200:201], v[40:41]
	v_mul_f64 v[40:41], v[202:203], v[40:41]
	v_fmac_f64_e32 v[94:95], v[192:193], v[68:69]
	v_mul_f64 v[68:69], v[194:195], v[68:69]
	v_fma_f64 v[126:127], v[200:201], v[42:43], -v[40:41]
	v_add_f64 v[40:41], v[20:21], v[128:129]
	v_fma_f64 v[154:155], v[192:193], v[70:71], -v[68:69]
	v_mul_f64 v[114:115], v[250:251], v[50:51]
	v_add_f64 v[68:69], v[40:41], v[86:87]
	v_add_f64 v[40:41], v[128:129], v[86:87]
	v_fmac_f64_e32 v[114:115], v[248:249], v[48:49]
	v_mul_f64 v[48:49], v[250:251], v[48:49]
	v_fmac_f64_e32 v[20:21], -0.5, v[40:41]
	v_add_f64 v[40:41], v[84:85], -v[76:77]
	v_fma_f64 v[124:125], v[248:249], v[50:51], -v[48:49]
	v_fma_f64 v[48:49], s[26:27], v[40:41], v[20:21]
	v_fmac_f64_e32 v[20:21], s[10:11], v[40:41]
	v_add_f64 v[40:41], v[22:23], v[84:85]
	v_fmac_f64_e32 v[132:133], v[120:121], v[112:113]
	v_mul_f64 v[106:107], v[182:183], v[46:47]
	v_add_f64 v[70:71], v[40:41], v[76:77]
	v_add_f64 v[40:41], v[84:85], v[76:77]
	v_mul_f64 v[104:105], v[254:255], v[54:55]
	v_fmac_f64_e32 v[106:107], v[180:181], v[44:45]
	v_mul_f64 v[44:45], v[182:183], v[44:45]
	v_fmac_f64_e32 v[22:23], -0.5, v[40:41]
	v_add_f64 v[40:41], v[128:129], -v[86:87]
	v_add_f64 v[42:43], v[78:79], v[132:133]
	v_fmac_f64_e32 v[136:137], v[196:197], v[116:117]
	v_mul_f64 v[112:113], v[190:191], v[58:59]
	v_fmac_f64_e32 v[104:105], v[252:253], v[52:53]
	v_mul_f64 v[52:53], v[254:255], v[52:53]
	v_fma_f64 v[120:121], v[180:181], v[46:47], -v[44:45]
	v_fma_f64 v[50:51], s[10:11], v[40:41], v[22:23]
	v_fmac_f64_e32 v[22:23], s[26:27], v[40:41]
	v_add_f64 v[40:41], v[28:29], v[78:79]
	v_fmac_f64_e32 v[28:29], -0.5, v[42:43]
	v_add_f64 v[42:43], v[130:131], -v[134:135]
	v_add_f64 v[46:47], v[130:131], v[134:135]
	v_mul_f64 v[102:103], v[214:215], v[62:63]
	v_fmac_f64_e32 v[112:113], v[188:189], v[56:57]
	v_mul_f64 v[56:57], v[190:191], v[56:57]
	v_fma_f64 v[108:109], v[252:253], v[54:55], -v[52:53]
	v_fma_f64 v[44:45], s[26:27], v[42:43], v[28:29]
	v_fmac_f64_e32 v[28:29], s[10:11], v[42:43]
	v_add_f64 v[42:43], v[30:31], v[130:131]
	v_fmac_f64_e32 v[30:31], -0.5, v[46:47]
	v_add_f64 v[52:53], v[78:79], -v[132:133]
	v_add_f64 v[54:55], v[136:137], v[138:139]
	;; [unrolled: 10-line block ×3, first 2 shown]
	v_mul_f64 v[146:147], v[218:219], v[90:91]
	v_mul_f64 v[150:151], v[226:227], v[74:75]
	v_fmac_f64_e32 v[156:157], v[232:233], v[64:65]
	v_mul_f64 v[64:65], v[234:235], v[64:65]
	v_fma_f64 v[110:111], v[212:213], v[62:63], -v[60:61]
	v_fma_f64 v[56:57], s[26:27], v[54:55], v[36:37]
	v_fmac_f64_e32 v[36:37], s[10:11], v[54:55]
	v_add_f64 v[54:55], v[38:39], v[118:119]
	v_fmac_f64_e32 v[38:39], -0.5, v[58:59]
	v_add_f64 v[60:61], v[136:137], -v[138:139]
	v_add_f64 v[62:63], v[142:143], v[144:145]
	v_fmac_f64_e32 v[146:147], v[216:217], v[88:89]
	v_mul_f64 v[88:89], v[218:219], v[88:89]
	v_fmac_f64_e32 v[150:151], v[224:225], v[72:73]
	v_mul_f64 v[72:73], v[226:227], v[72:73]
	v_fma_f64 v[158:159], v[232:233], v[66:67], -v[64:65]
	v_fma_f64 v[58:59], s[10:11], v[60:61], v[38:39]
	v_fmac_f64_e32 v[38:39], s[26:27], v[60:61]
	v_add_f64 v[60:61], v[32:33], v[142:143]
	v_fmac_f64_e32 v[32:33], -0.5, v[62:63]
	v_add_f64 v[62:63], v[100:101], -v[96:97]
	v_add_f64 v[66:67], v[100:101], v[96:97]
	v_fma_f64 v[88:89], v[216:217], v[90:91], -v[88:89]
	v_mul_f64 v[90:91], v[230:231], v[82:83]
	v_fma_f64 v[152:153], v[224:225], v[74:75], -v[72:73]
	v_fma_f64 v[64:65], s[26:27], v[62:63], v[32:33]
	v_fmac_f64_e32 v[32:33], s[10:11], v[62:63]
	v_add_f64 v[62:63], v[34:35], v[100:101]
	v_fmac_f64_e32 v[34:35], -0.5, v[66:67]
	v_add_f64 v[72:73], v[142:143], -v[144:145]
	v_add_f64 v[74:75], v[98:99], v[146:147]
	v_fmac_f64_e32 v[90:91], v[228:229], v[80:81]
	v_mul_f64 v[80:81], v[230:231], v[80:81]
	v_fma_f64 v[66:67], s[10:11], v[72:73], v[34:35]
	v_fmac_f64_e32 v[34:35], s[26:27], v[72:73]
	v_add_f64 v[72:73], v[24:25], v[98:99]
	v_fmac_f64_e32 v[24:25], -0.5, v[74:75]
	v_add_f64 v[74:75], v[92:93], -v[88:89]
	v_add_f64 v[78:79], v[92:93], v[88:89]
	v_fma_f64 v[148:149], v[228:229], v[82:83], -v[80:81]
	v_fma_f64 v[76:77], s[26:27], v[74:75], v[24:25]
	v_fmac_f64_e32 v[24:25], s[10:11], v[74:75]
	v_add_f64 v[74:75], v[26:27], v[92:93]
	v_fmac_f64_e32 v[26:27], -0.5, v[78:79]
	v_add_f64 v[80:81], v[98:99], -v[146:147]
	v_add_f64 v[82:83], v[90:91], v[150:151]
	v_fma_f64 v[78:79], s[10:11], v[80:81], v[26:27]
	v_fmac_f64_e32 v[26:27], s[26:27], v[80:81]
	v_add_f64 v[80:81], v[16:17], v[90:91]
	v_fmac_f64_e32 v[16:17], -0.5, v[82:83]
	v_add_f64 v[82:83], v[148:149], -v[152:153]
	v_add_f64 v[86:87], v[148:149], v[152:153]
	v_add_f64 v[74:75], v[74:75], v[88:89]
	v_fma_f64 v[84:85], s[26:27], v[82:83], v[16:17]
	v_fmac_f64_e32 v[16:17], s[10:11], v[82:83]
	v_add_f64 v[82:83], v[18:19], v[148:149]
	v_fmac_f64_e32 v[18:19], -0.5, v[86:87]
	v_add_f64 v[88:89], v[90:91], -v[150:151]
	v_add_f64 v[90:91], v[94:95], v[156:157]
	;; [unrolled: 7-line block ×3, first 2 shown]
	v_fma_f64 v[92:93], s[26:27], v[90:91], v[12:13]
	v_fmac_f64_e32 v[12:13], s[10:11], v[90:91]
	v_add_f64 v[90:91], v[14:15], v[154:155]
	v_fmac_f64_e32 v[14:15], -0.5, v[96:97]
	v_add_f64 v[96:97], v[94:95], -v[156:157]
	v_add_f64 v[98:99], v[102:103], v[112:113]
	v_fma_f64 v[94:95], s[10:11], v[96:97], v[14:15]
	v_fmac_f64_e32 v[14:15], s[26:27], v[96:97]
	v_add_f64 v[96:97], v[8:9], v[102:103]
	v_fmac_f64_e32 v[8:9], -0.5, v[98:99]
	v_add_f64 v[98:99], v[110:111], -v[116:117]
	v_fma_f64 v[100:101], s[26:27], v[98:99], v[8:9]
	v_fmac_f64_e32 v[8:9], s[10:11], v[98:99]
	v_add_f64 v[98:99], v[10:11], v[110:111]
	v_add_f64 v[110:111], v[110:111], v[116:117]
	v_fmac_f64_e32 v[10:11], -0.5, v[110:111]
	v_add_f64 v[110:111], v[102:103], -v[112:113]
	v_fma_f64 v[102:103], s[10:11], v[110:111], v[10:11]
	v_fmac_f64_e32 v[10:11], s[26:27], v[110:111]
	v_add_f64 v[110:111], v[4:5], v[104:105]
	v_add_f64 v[98:99], v[98:99], v[116:117]
	;; [unrolled: 1-line block ×4, first 2 shown]
	v_fmac_f64_e32 v[4:5], -0.5, v[110:111]
	v_add_f64 v[110:111], v[108:109], -v[124:125]
	v_add_f64 v[96:97], v[96:97], v[112:113]
	v_fma_f64 v[112:113], s[26:27], v[110:111], v[4:5]
	v_fmac_f64_e32 v[4:5], s[10:11], v[110:111]
	v_add_f64 v[110:111], v[6:7], v[108:109]
	v_add_f64 v[108:109], v[108:109], v[124:125]
	v_fmac_f64_e32 v[6:7], -0.5, v[108:109]
	v_add_f64 v[104:105], v[104:105], -v[114:115]
	v_fma_f64 v[114:115], s[10:11], v[104:105], v[6:7]
	v_fmac_f64_e32 v[6:7], s[26:27], v[104:105]
	v_add_f64 v[104:105], v[0:1], v[106:107]
	v_add_f64 v[108:109], v[104:105], v[122:123]
	;; [unrolled: 1-line block ×4, first 2 shown]
	v_fmac_f64_e32 v[0:1], -0.5, v[104:105]
	v_add_f64 v[110:111], v[120:121], -v[126:127]
	v_fma_f64 v[104:105], s[26:27], v[110:111], v[0:1]
	v_fmac_f64_e32 v[0:1], s[10:11], v[110:111]
	v_add_f64 v[110:111], v[2:3], v[120:121]
	v_add_f64 v[120:121], v[120:121], v[126:127]
	v_fmac_f64_e32 v[2:3], -0.5, v[120:121]
	v_add_f64 v[120:121], v[106:107], -v[122:123]
	v_fma_f64 v[106:107], s[10:11], v[120:121], v[2:3]
	v_fmac_f64_e32 v[2:3], s[26:27], v[120:121]
	v_add_f64 v[40:41], v[40:41], v[132:133]
	v_add_f64 v[42:43], v[42:43], v[134:135]
	;; [unrolled: 1-line block ×11, first 2 shown]
	ds_write_b128 v237, v[68:71]
	ds_write_b128 v237, v[48:51] offset:800
	ds_write_b128 v237, v[20:23] offset:1600
	;; [unrolled: 1-line block ×29, first 2 shown]
	s_waitcnt lgkmcnt(0)
	; wave barrier
	s_waitcnt lgkmcnt(0)
	ds_read_b128 v[0:3], v237
	v_accvgpr_read_b32 v9, a5
	v_accvgpr_read_b32 v8, a4
	;; [unrolled: 1-line block ×4, first 2 shown]
	s_waitcnt lgkmcnt(0)
	v_mul_f64 v[4:5], v[8:9], v[2:3]
	v_fmac_f64_e32 v[4:5], v[6:7], v[0:1]
	s_mov_b32 s2, 0xb4e81b4f
	v_mul_f64 v[0:1], v[8:9], v[0:1]
	s_mov_b32 s3, 0x3f7b4e81
	v_fma_f64 v[0:1], v[6:7], v[2:3], -v[0:1]
	v_mul_f64 v[6:7], v[0:1], s[2:3]
	v_mad_u64_u32 v[0:1], s[4:5], s0, v247, 0
	v_mov_b32_e32 v2, v1
	v_mad_u64_u32 v[2:3], s[4:5], s1, v247, v[2:3]
	v_mov_b32_e32 v1, v2
	v_accvgpr_read_b32 v3, a1
	v_accvgpr_read_b32 v2, a0
	v_lshlrev_b64 v[2:3], 4, v[2:3]
	v_add_co_u32_e32 v2, vcc, s12, v2
	v_mov_b32_e32 v8, s13
	v_addc_co_u32_e32 v3, vcc, v8, v3, vcc
	v_lshlrev_b64 v[0:1], 4, v[0:1]
	v_add_co_u32_e32 v0, vcc, v2, v0
	v_mul_f64 v[4:5], v[4:5], s[2:3]
	v_addc_co_u32_e32 v1, vcc, v3, v1, vcc
	global_store_dwordx4 v[0:1], v[4:7], off
	ds_read_b128 v[4:7], v237 offset:240
	v_accvgpr_read_b32 v10, a36
	v_accvgpr_read_b32 v12, a38
	;; [unrolled: 1-line block ×4, first 2 shown]
	s_waitcnt lgkmcnt(0)
	v_mul_f64 v[8:9], v[12:13], v[6:7]
	v_fmac_f64_e32 v[8:9], v[10:11], v[4:5]
	v_mul_f64 v[4:5], v[12:13], v[4:5]
	v_fma_f64 v[4:5], v[10:11], v[6:7], -v[4:5]
	v_mul_f64 v[10:11], v[4:5], s[2:3]
	v_mad_u64_u32 v[0:1], s[4:5], s0, v244, v[0:1]
	ds_read_b128 v[4:7], v237 offset:480
	s_mul_i32 s4, s1, 0xf0
	v_mul_f64 v[8:9], v[8:9], s[2:3]
	v_add_u32_e32 v1, s4, v1
	global_store_dwordx4 v[0:1], v[8:11], off
	v_mad_u64_u32 v[0:1], s[6:7], s0, v244, v[0:1]
	v_accvgpr_read_b32 v10, a28
	v_accvgpr_read_b32 v12, a30
	v_accvgpr_read_b32 v13, a31
	v_accvgpr_read_b32 v11, a29
	s_waitcnt lgkmcnt(0)
	v_mul_f64 v[8:9], v[12:13], v[6:7]
	v_fmac_f64_e32 v[8:9], v[10:11], v[4:5]
	v_mul_f64 v[4:5], v[12:13], v[4:5]
	v_fma_f64 v[4:5], v[10:11], v[6:7], -v[4:5]
	v_mul_f64 v[10:11], v[4:5], s[2:3]
	ds_read_b128 v[4:7], v237 offset:720
	v_mul_f64 v[8:9], v[8:9], s[2:3]
	v_add_u32_e32 v1, s4, v1
	global_store_dwordx4 v[0:1], v[8:11], off
	v_mad_u64_u32 v[0:1], s[6:7], s0, v244, v[0:1]
	v_accvgpr_read_b32 v10, a32
	v_accvgpr_read_b32 v12, a34
	v_accvgpr_read_b32 v13, a35
	v_accvgpr_read_b32 v11, a33
	s_waitcnt lgkmcnt(0)
	v_mul_f64 v[8:9], v[12:13], v[6:7]
	v_fmac_f64_e32 v[8:9], v[10:11], v[4:5]
	v_mul_f64 v[4:5], v[12:13], v[4:5]
	v_fma_f64 v[4:5], v[10:11], v[6:7], -v[4:5]
	v_mul_f64 v[10:11], v[4:5], s[2:3]
	ds_read_b128 v[4:7], v237 offset:960
	v_mul_f64 v[8:9], v[8:9], s[2:3]
	v_add_u32_e32 v1, s4, v1
	global_store_dwordx4 v[0:1], v[8:11], off
	v_mad_u64_u32 v[0:1], s[6:7], s0, v244, v[0:1]
	v_accvgpr_read_b32 v10, a24
	v_accvgpr_read_b32 v12, a26
	v_accvgpr_read_b32 v13, a27
	v_accvgpr_read_b32 v11, a25
	s_waitcnt lgkmcnt(0)
	v_mul_f64 v[8:9], v[12:13], v[6:7]
	v_fmac_f64_e32 v[8:9], v[10:11], v[4:5]
	v_mul_f64 v[4:5], v[12:13], v[4:5]
	v_fma_f64 v[4:5], v[10:11], v[6:7], -v[4:5]
	v_mul_f64 v[10:11], v[4:5], s[2:3]
	ds_read_b128 v[4:7], v237 offset:1200
	v_mul_f64 v[8:9], v[8:9], s[2:3]
	v_add_u32_e32 v1, s4, v1
	global_store_dwordx4 v[0:1], v[8:11], off
	v_mad_u64_u32 v[0:1], s[6:7], s0, v244, v[0:1]
	v_accvgpr_read_b32 v10, a16
	v_accvgpr_read_b32 v12, a18
	v_accvgpr_read_b32 v13, a19
	v_accvgpr_read_b32 v11, a17
	s_waitcnt lgkmcnt(0)
	v_mul_f64 v[8:9], v[12:13], v[6:7]
	v_fmac_f64_e32 v[8:9], v[10:11], v[4:5]
	v_mul_f64 v[4:5], v[12:13], v[4:5]
	v_fma_f64 v[4:5], v[10:11], v[6:7], -v[4:5]
	v_mul_f64 v[10:11], v[4:5], s[2:3]
	ds_read_b128 v[4:7], v237 offset:1440
	v_mul_f64 v[8:9], v[8:9], s[2:3]
	v_add_u32_e32 v1, s4, v1
	global_store_dwordx4 v[0:1], v[8:11], off
	v_mad_u64_u32 v[0:1], s[6:7], s0, v244, v[0:1]
	v_accvgpr_read_b32 v10, a12
	v_accvgpr_read_b32 v12, a14
	v_accvgpr_read_b32 v13, a15
	v_accvgpr_read_b32 v11, a13
	s_waitcnt lgkmcnt(0)
	v_mul_f64 v[8:9], v[12:13], v[6:7]
	v_fmac_f64_e32 v[8:9], v[10:11], v[4:5]
	v_mul_f64 v[4:5], v[12:13], v[4:5]
	v_fma_f64 v[4:5], v[10:11], v[6:7], -v[4:5]
	v_mul_f64 v[10:11], v[4:5], s[2:3]
	ds_read_b128 v[4:7], v237 offset:1680
	v_mul_f64 v[8:9], v[8:9], s[2:3]
	v_add_u32_e32 v1, s4, v1
	global_store_dwordx4 v[0:1], v[8:11], off
	v_accvgpr_read_b32 v13, a11
	v_accvgpr_read_b32 v12, a10
	;; [unrolled: 1-line block ×4, first 2 shown]
	s_waitcnt lgkmcnt(0)
	v_mul_f64 v[8:9], v[12:13], v[6:7]
	v_fmac_f64_e32 v[8:9], v[10:11], v[4:5]
	v_mul_f64 v[4:5], v[12:13], v[4:5]
	v_fma_f64 v[4:5], v[10:11], v[6:7], -v[4:5]
	v_mul_f64 v[10:11], v[4:5], s[2:3]
	ds_read_b128 v[4:7], v237 offset:1920
	v_mad_u64_u32 v[0:1], s[6:7], s0, v244, v[0:1]
	v_mul_f64 v[8:9], v[8:9], s[2:3]
	v_add_u32_e32 v1, s4, v1
	global_store_dwordx4 v[0:1], v[8:11], off
	s_mul_i32 s5, s1, 0x1e0
	v_accvgpr_read_b32 v10, a20
	v_accvgpr_read_b32 v12, a22
	;; [unrolled: 1-line block ×4, first 2 shown]
	s_waitcnt lgkmcnt(0)
	v_mul_f64 v[8:9], v[12:13], v[6:7]
	v_fmac_f64_e32 v[8:9], v[10:11], v[4:5]
	v_mul_f64 v[4:5], v[12:13], v[4:5]
	v_fma_f64 v[4:5], v[10:11], v[6:7], -v[4:5]
	v_accvgpr_read_b32 v7, a6
	v_mul_f64 v[10:11], v[4:5], s[2:3]
	v_mad_u64_u32 v[4:5], s[6:7], s0, v7, 0
	v_mov_b32_e32 v6, v5
	v_mad_u64_u32 v[6:7], s[6:7], s1, v7, v[6:7]
	v_mov_b32_e32 v5, v6
	v_lshlrev_b64 v[4:5], 4, v[4:5]
	v_add_co_u32_e32 v4, vcc, v2, v4
	v_mul_f64 v[8:9], v[8:9], s[2:3]
	v_addc_co_u32_e32 v5, vcc, v3, v5, vcc
	global_store_dwordx4 v[4:5], v[8:11], off
	ds_read_b128 v[4:7], v237 offset:2160
	v_accvgpr_read_b32 v10, a122
	v_accvgpr_read_b32 v12, a124
	;; [unrolled: 1-line block ×4, first 2 shown]
	s_waitcnt lgkmcnt(0)
	v_mul_f64 v[8:9], v[12:13], v[6:7]
	v_fmac_f64_e32 v[8:9], v[10:11], v[4:5]
	v_mul_f64 v[4:5], v[12:13], v[4:5]
	v_fma_f64 v[4:5], v[10:11], v[6:7], -v[4:5]
	v_mul_f64 v[10:11], v[4:5], s[2:3]
	ds_read_b128 v[4:7], v237 offset:80
	v_mov_b32_e32 v12, 0x1e0
	v_mad_u64_u32 v[0:1], s[6:7], s0, v12, v[0:1]
	v_accvgpr_read_b32 v14, a52
	v_mul_f64 v[8:9], v[8:9], s[2:3]
	v_add_u32_e32 v1, s5, v1
	v_accvgpr_read_b32 v16, a54
	v_accvgpr_read_b32 v17, a55
	global_store_dwordx4 v[0:1], v[8:11], off
	v_accvgpr_read_b32 v15, a53
	s_waitcnt lgkmcnt(0)
	v_mul_f64 v[8:9], v[16:17], v[6:7]
	v_fmac_f64_e32 v[8:9], v[14:15], v[4:5]
	v_mul_f64 v[4:5], v[16:17], v[4:5]
	v_fma_f64 v[4:5], v[14:15], v[6:7], -v[4:5]
	v_mul_f64 v[10:11], v[4:5], s[2:3]
	v_mov_b32_e32 v13, 0xfffff7e0
	ds_read_b128 v[4:7], v237 offset:320
	v_mad_u64_u32 v[0:1], s[6:7], s0, v13, v[0:1]
	s_mul_i32 s6, s1, 0xfffff7e0
	s_sub_i32 s6, s6, s0
	v_accvgpr_read_b32 v14, a48
	v_mul_f64 v[8:9], v[8:9], s[2:3]
	v_add_u32_e32 v1, s6, v1
	v_accvgpr_read_b32 v16, a50
	v_accvgpr_read_b32 v17, a51
	global_store_dwordx4 v[0:1], v[8:11], off
	v_accvgpr_read_b32 v15, a49
	s_waitcnt lgkmcnt(0)
	v_mul_f64 v[8:9], v[16:17], v[6:7]
	v_fmac_f64_e32 v[8:9], v[14:15], v[4:5]
	v_mul_f64 v[4:5], v[16:17], v[4:5]
	v_fma_f64 v[4:5], v[14:15], v[6:7], -v[4:5]
	v_mul_f64 v[10:11], v[4:5], s[2:3]
	ds_read_b128 v[4:7], v237 offset:560
	v_mad_u64_u32 v[0:1], s[8:9], s0, v244, v[0:1]
	v_accvgpr_read_b32 v14, a44
	v_mul_f64 v[8:9], v[8:9], s[2:3]
	v_add_u32_e32 v1, s4, v1
	v_accvgpr_read_b32 v16, a46
	v_accvgpr_read_b32 v17, a47
	global_store_dwordx4 v[0:1], v[8:11], off
	v_accvgpr_read_b32 v15, a45
	s_waitcnt lgkmcnt(0)
	v_mul_f64 v[8:9], v[16:17], v[6:7]
	v_fmac_f64_e32 v[8:9], v[14:15], v[4:5]
	v_mul_f64 v[4:5], v[16:17], v[4:5]
	v_fma_f64 v[4:5], v[14:15], v[6:7], -v[4:5]
	v_mul_f64 v[10:11], v[4:5], s[2:3]
	ds_read_b128 v[4:7], v237 offset:800
	v_mad_u64_u32 v[0:1], s[8:9], s0, v244, v[0:1]
	;; [unrolled: 15-line block ×4, first 2 shown]
	v_accvgpr_read_b32 v14, a78
	v_mul_f64 v[8:9], v[8:9], s[2:3]
	v_add_u32_e32 v1, s4, v1
	v_accvgpr_read_b32 v16, a80
	v_accvgpr_read_b32 v17, a81
	global_store_dwordx4 v[0:1], v[8:11], off
	v_accvgpr_read_b32 v15, a79
	s_waitcnt lgkmcnt(0)
	v_mul_f64 v[8:9], v[16:17], v[6:7]
	v_fmac_f64_e32 v[8:9], v[14:15], v[4:5]
	v_mul_f64 v[4:5], v[16:17], v[4:5]
	v_fma_f64 v[4:5], v[14:15], v[6:7], -v[4:5]
	v_accvgpr_read_b32 v7, a56
	v_mul_f64 v[10:11], v[4:5], s[2:3]
	v_mad_u64_u32 v[4:5], s[8:9], s0, v7, 0
	v_mov_b32_e32 v6, v5
	v_mad_u64_u32 v[6:7], s[8:9], s1, v7, v[6:7]
	v_mov_b32_e32 v5, v6
	v_lshlrev_b64 v[4:5], 4, v[4:5]
	v_add_co_u32_e32 v4, vcc, v2, v4
	v_mul_f64 v[8:9], v[8:9], s[2:3]
	v_addc_co_u32_e32 v5, vcc, v3, v5, vcc
	global_store_dwordx4 v[4:5], v[8:11], off
	ds_read_b128 v[4:7], v237 offset:1520
	v_accvgpr_read_b32 v14, a70
	v_accvgpr_read_b32 v16, a72
	;; [unrolled: 1-line block ×4, first 2 shown]
	s_waitcnt lgkmcnt(0)
	v_mul_f64 v[8:9], v[16:17], v[6:7]
	v_fmac_f64_e32 v[8:9], v[14:15], v[4:5]
	v_mul_f64 v[4:5], v[16:17], v[4:5]
	v_fma_f64 v[4:5], v[14:15], v[6:7], -v[4:5]
	v_mul_f64 v[10:11], v[4:5], s[2:3]
	ds_read_b128 v[4:7], v237 offset:1760
	v_mad_u64_u32 v[0:1], s[8:9], s0, v12, v[0:1]
	v_accvgpr_read_b32 v16, a66
	v_mul_f64 v[8:9], v[8:9], s[2:3]
	v_add_u32_e32 v1, s5, v1
	v_accvgpr_read_b32 v18, a68
	v_accvgpr_read_b32 v19, a69
	global_store_dwordx4 v[0:1], v[8:11], off
	v_accvgpr_read_b32 v17, a67
	s_waitcnt lgkmcnt(0)
	v_mul_f64 v[8:9], v[18:19], v[6:7]
	v_fmac_f64_e32 v[8:9], v[16:17], v[4:5]
	v_mul_f64 v[4:5], v[18:19], v[4:5]
	v_fma_f64 v[4:5], v[16:17], v[6:7], -v[4:5]
	v_mul_f64 v[10:11], v[4:5], s[2:3]
	ds_read_b128 v[4:7], v237 offset:2000
	v_mad_u64_u32 v[0:1], s[8:9], s0, v244, v[0:1]
	v_accvgpr_read_b32 v16, a62
	v_mul_f64 v[8:9], v[8:9], s[2:3]
	v_add_u32_e32 v1, s4, v1
	v_accvgpr_read_b32 v18, a64
	v_accvgpr_read_b32 v19, a65
	global_store_dwordx4 v[0:1], v[8:11], off
	v_accvgpr_read_b32 v17, a63
	;; [unrolled: 15-line block ×4, first 2 shown]
	s_waitcnt lgkmcnt(0)
	v_mul_f64 v[8:9], v[18:19], v[6:7]
	v_fmac_f64_e32 v[8:9], v[16:17], v[4:5]
	v_mul_f64 v[4:5], v[18:19], v[4:5]
	v_fma_f64 v[4:5], v[16:17], v[6:7], -v[4:5]
	v_mul_f64 v[10:11], v[4:5], s[2:3]
	ds_read_b128 v[4:7], v237 offset:400
	v_mad_u64_u32 v[0:1], s[8:9], s0, v13, v[0:1]
	v_mul_f64 v[8:9], v[8:9], s[2:3]
	v_add_u32_e32 v1, s6, v1
	global_store_dwordx4 v[0:1], v[8:11], off
	v_accvgpr_read_b32 v16, a114
	v_accvgpr_read_b32 v10, a86
	;; [unrolled: 1-line block ×5, first 2 shown]
	s_waitcnt lgkmcnt(0)
	v_mul_f64 v[8:9], v[12:13], v[6:7]
	v_fmac_f64_e32 v[8:9], v[10:11], v[4:5]
	v_mul_f64 v[4:5], v[12:13], v[4:5]
	v_fma_f64 v[4:5], v[10:11], v[6:7], -v[4:5]
	v_mul_f64 v[10:11], v[4:5], s[2:3]
	ds_read_b128 v[4:7], v237 offset:640
	v_accvgpr_read_b32 v18, a116
	v_accvgpr_read_b32 v19, a117
	v_mad_u64_u32 v[12:13], s[6:7], s0, v244, v[0:1]
	v_accvgpr_read_b32 v17, a115
	s_waitcnt lgkmcnt(0)
	v_mul_f64 v[0:1], v[18:19], v[6:7]
	v_mul_f64 v[8:9], v[8:9], s[2:3]
	v_add_u32_e32 v13, s4, v13
	v_fmac_f64_e32 v[0:1], v[16:17], v[4:5]
	global_store_dwordx4 v[12:13], v[8:11], off
	v_mov_b32_e32 v14, 0x1e0
	v_mul_f64 v[8:9], v[0:1], s[2:3]
	v_mul_f64 v[0:1], v[18:19], v[4:5]
	v_fma_f64 v[0:1], v[16:17], v[6:7], -v[0:1]
	v_accvgpr_read_b32 v5, a7
	v_mul_f64 v[10:11], v[0:1], s[2:3]
	v_mad_u64_u32 v[0:1], s[6:7], s0, v5, 0
	v_mov_b32_e32 v4, v1
	v_mad_u64_u32 v[4:5], s[6:7], s1, v5, v[4:5]
	v_mov_b32_e32 v1, v4
	v_lshlrev_b64 v[0:1], 4, v[0:1]
	v_add_co_u32_e32 v0, vcc, v2, v0
	v_addc_co_u32_e32 v1, vcc, v3, v1, vcc
	global_store_dwordx4 v[0:1], v[8:11], off
	ds_read_b128 v[0:3], v237 offset:880
	v_accvgpr_read_b32 v6, a110
	v_accvgpr_read_b32 v8, a112
	;; [unrolled: 1-line block ×4, first 2 shown]
	s_waitcnt lgkmcnt(0)
	v_mul_f64 v[4:5], v[8:9], v[2:3]
	v_fmac_f64_e32 v[4:5], v[6:7], v[0:1]
	v_mul_f64 v[0:1], v[8:9], v[0:1]
	v_fma_f64 v[0:1], v[6:7], v[2:3], -v[0:1]
	v_mul_f64 v[6:7], v[0:1], s[2:3]
	ds_read_b128 v[0:3], v237 offset:1120
	v_mad_u64_u32 v[8:9], s[6:7], s0, v14, v[12:13]
	v_accvgpr_read_b32 v10, a106
	v_mul_f64 v[4:5], v[4:5], s[2:3]
	v_add_u32_e32 v9, s5, v9
	v_accvgpr_read_b32 v12, a108
	v_accvgpr_read_b32 v13, a109
	global_store_dwordx4 v[8:9], v[4:7], off
	v_accvgpr_read_b32 v11, a107
	s_waitcnt lgkmcnt(0)
	v_mul_f64 v[4:5], v[12:13], v[2:3]
	v_fmac_f64_e32 v[4:5], v[10:11], v[0:1]
	v_mul_f64 v[0:1], v[12:13], v[0:1]
	v_fma_f64 v[0:1], v[10:11], v[2:3], -v[0:1]
	v_mul_f64 v[6:7], v[0:1], s[2:3]
	ds_read_b128 v[0:3], v237 offset:1360
	v_mad_u64_u32 v[8:9], s[6:7], s0, v244, v[8:9]
	v_accvgpr_read_b32 v10, a102
	v_mul_f64 v[4:5], v[4:5], s[2:3]
	v_add_u32_e32 v9, s4, v9
	v_accvgpr_read_b32 v12, a104
	v_accvgpr_read_b32 v13, a105
	global_store_dwordx4 v[8:9], v[4:7], off
	v_accvgpr_read_b32 v11, a103
	;; [unrolled: 15-line block ×6, first 2 shown]
	s_waitcnt lgkmcnt(0)
	v_mul_f64 v[4:5], v[12:13], v[2:3]
	v_fmac_f64_e32 v[4:5], v[10:11], v[0:1]
	v_mul_f64 v[0:1], v[12:13], v[0:1]
	v_fma_f64 v[0:1], v[10:11], v[2:3], -v[0:1]
	v_mul_f64 v[6:7], v[0:1], s[2:3]
	v_mad_u64_u32 v[0:1], s[0:1], s0, v244, v[8:9]
	v_mul_f64 v[4:5], v[4:5], s[2:3]
	v_add_u32_e32 v1, s4, v1
	global_store_dwordx4 v[0:1], v[4:7], off
.LBB0_2:
	s_endpgm
	.section	.rodata,"a",@progbits
	.p2align	6, 0x0
	.amdhsa_kernel bluestein_single_fwd_len150_dim1_dp_op_CI_CI
		.amdhsa_group_segment_fixed_size 28800
		.amdhsa_private_segment_fixed_size 0
		.amdhsa_kernarg_size 104
		.amdhsa_user_sgpr_count 6
		.amdhsa_user_sgpr_private_segment_buffer 1
		.amdhsa_user_sgpr_dispatch_ptr 0
		.amdhsa_user_sgpr_queue_ptr 0
		.amdhsa_user_sgpr_kernarg_segment_ptr 1
		.amdhsa_user_sgpr_dispatch_id 0
		.amdhsa_user_sgpr_flat_scratch_init 0
		.amdhsa_user_sgpr_kernarg_preload_length 0
		.amdhsa_user_sgpr_kernarg_preload_offset 0
		.amdhsa_user_sgpr_private_segment_size 0
		.amdhsa_uses_dynamic_stack 0
		.amdhsa_system_sgpr_private_segment_wavefront_offset 0
		.amdhsa_system_sgpr_workgroup_id_x 1
		.amdhsa_system_sgpr_workgroup_id_y 0
		.amdhsa_system_sgpr_workgroup_id_z 0
		.amdhsa_system_sgpr_workgroup_info 0
		.amdhsa_system_vgpr_workitem_id 0
		.amdhsa_next_free_vgpr 442
		.amdhsa_next_free_sgpr 28
		.amdhsa_accum_offset 256
		.amdhsa_reserve_vcc 1
		.amdhsa_reserve_flat_scratch 0
		.amdhsa_float_round_mode_32 0
		.amdhsa_float_round_mode_16_64 0
		.amdhsa_float_denorm_mode_32 3
		.amdhsa_float_denorm_mode_16_64 3
		.amdhsa_dx10_clamp 1
		.amdhsa_ieee_mode 1
		.amdhsa_fp16_overflow 0
		.amdhsa_tg_split 0
		.amdhsa_exception_fp_ieee_invalid_op 0
		.amdhsa_exception_fp_denorm_src 0
		.amdhsa_exception_fp_ieee_div_zero 0
		.amdhsa_exception_fp_ieee_overflow 0
		.amdhsa_exception_fp_ieee_underflow 0
		.amdhsa_exception_fp_ieee_inexact 0
		.amdhsa_exception_int_div_zero 0
	.end_amdhsa_kernel
	.text
.Lfunc_end0:
	.size	bluestein_single_fwd_len150_dim1_dp_op_CI_CI, .Lfunc_end0-bluestein_single_fwd_len150_dim1_dp_op_CI_CI
                                        ; -- End function
	.section	.AMDGPU.csdata,"",@progbits
; Kernel info:
; codeLenInByte = 28096
; NumSgprs: 32
; NumVgprs: 256
; NumAgprs: 186
; TotalNumVgprs: 442
; ScratchSize: 0
; MemoryBound: 0
; FloatMode: 240
; IeeeMode: 1
; LDSByteSize: 28800 bytes/workgroup (compile time only)
; SGPRBlocks: 3
; VGPRBlocks: 55
; NumSGPRsForWavesPerEU: 32
; NumVGPRsForWavesPerEU: 442
; AccumOffset: 256
; Occupancy: 1
; WaveLimiterHint : 1
; COMPUTE_PGM_RSRC2:SCRATCH_EN: 0
; COMPUTE_PGM_RSRC2:USER_SGPR: 6
; COMPUTE_PGM_RSRC2:TRAP_HANDLER: 0
; COMPUTE_PGM_RSRC2:TGID_X_EN: 1
; COMPUTE_PGM_RSRC2:TGID_Y_EN: 0
; COMPUTE_PGM_RSRC2:TGID_Z_EN: 0
; COMPUTE_PGM_RSRC2:TIDIG_COMP_CNT: 0
; COMPUTE_PGM_RSRC3_GFX90A:ACCUM_OFFSET: 63
; COMPUTE_PGM_RSRC3_GFX90A:TG_SPLIT: 0
	.text
	.p2alignl 6, 3212836864
	.fill 256, 4, 3212836864
	.type	__hip_cuid_33db5399a486edb9,@object ; @__hip_cuid_33db5399a486edb9
	.section	.bss,"aw",@nobits
	.globl	__hip_cuid_33db5399a486edb9
__hip_cuid_33db5399a486edb9:
	.byte	0                               ; 0x0
	.size	__hip_cuid_33db5399a486edb9, 1

	.ident	"AMD clang version 19.0.0git (https://github.com/RadeonOpenCompute/llvm-project roc-6.4.0 25133 c7fe45cf4b819c5991fe208aaa96edf142730f1d)"
	.section	".note.GNU-stack","",@progbits
	.addrsig
	.addrsig_sym __hip_cuid_33db5399a486edb9
	.amdgpu_metadata
---
amdhsa.kernels:
  - .agpr_count:     186
    .args:
      - .actual_access:  read_only
        .address_space:  global
        .offset:         0
        .size:           8
        .value_kind:     global_buffer
      - .actual_access:  read_only
        .address_space:  global
        .offset:         8
        .size:           8
        .value_kind:     global_buffer
      - .actual_access:  read_only
        .address_space:  global
        .offset:         16
        .size:           8
        .value_kind:     global_buffer
      - .actual_access:  read_only
        .address_space:  global
        .offset:         24
        .size:           8
        .value_kind:     global_buffer
      - .actual_access:  read_only
        .address_space:  global
        .offset:         32
        .size:           8
        .value_kind:     global_buffer
      - .offset:         40
        .size:           8
        .value_kind:     by_value
      - .address_space:  global
        .offset:         48
        .size:           8
        .value_kind:     global_buffer
      - .address_space:  global
        .offset:         56
        .size:           8
        .value_kind:     global_buffer
      - .address_space:  global
        .offset:         64
        .size:           8
        .value_kind:     global_buffer
      - .address_space:  global
        .offset:         72
        .size:           8
        .value_kind:     global_buffer
      - .offset:         80
        .size:           4
        .value_kind:     by_value
      - .address_space:  global
        .offset:         88
        .size:           8
        .value_kind:     global_buffer
      - .address_space:  global
        .offset:         96
        .size:           8
        .value_kind:     global_buffer
    .group_segment_fixed_size: 28800
    .kernarg_segment_align: 8
    .kernarg_segment_size: 104
    .language:       OpenCL C
    .language_version:
      - 2
      - 0
    .max_flat_workgroup_size: 60
    .name:           bluestein_single_fwd_len150_dim1_dp_op_CI_CI
    .private_segment_fixed_size: 0
    .sgpr_count:     32
    .sgpr_spill_count: 0
    .symbol:         bluestein_single_fwd_len150_dim1_dp_op_CI_CI.kd
    .uniform_work_group_size: 1
    .uses_dynamic_stack: false
    .vgpr_count:     442
    .vgpr_spill_count: 0
    .wavefront_size: 64
amdhsa.target:   amdgcn-amd-amdhsa--gfx90a
amdhsa.version:
  - 1
  - 2
...

	.end_amdgpu_metadata
